;; amdgpu-corpus repo=ROCm/rocFFT kind=compiled arch=gfx950 opt=O3
	.text
	.amdgcn_target "amdgcn-amd-amdhsa--gfx950"
	.amdhsa_code_object_version 6
	.protected	fft_rtc_fwd_len4000_factors_10_10_10_4_wgs_200_tpt_200_halfLds_sp_op_CI_CI_unitstride_sbrr_R2C_dirReg ; -- Begin function fft_rtc_fwd_len4000_factors_10_10_10_4_wgs_200_tpt_200_halfLds_sp_op_CI_CI_unitstride_sbrr_R2C_dirReg
	.globl	fft_rtc_fwd_len4000_factors_10_10_10_4_wgs_200_tpt_200_halfLds_sp_op_CI_CI_unitstride_sbrr_R2C_dirReg
	.p2align	8
	.type	fft_rtc_fwd_len4000_factors_10_10_10_4_wgs_200_tpt_200_halfLds_sp_op_CI_CI_unitstride_sbrr_R2C_dirReg,@function
fft_rtc_fwd_len4000_factors_10_10_10_4_wgs_200_tpt_200_halfLds_sp_op_CI_CI_unitstride_sbrr_R2C_dirReg: ; @fft_rtc_fwd_len4000_factors_10_10_10_4_wgs_200_tpt_200_halfLds_sp_op_CI_CI_unitstride_sbrr_R2C_dirReg
; %bb.0:
	s_load_dwordx4 s[4:7], s[0:1], 0x58
	s_load_dwordx4 s[8:11], s[0:1], 0x0
	;; [unrolled: 1-line block ×3, first 2 shown]
	v_mul_u32_u24_e32 v1, 0x148, v0
	v_add_u32_sdwa v6, s2, v1 dst_sel:DWORD dst_unused:UNUSED_PAD src0_sel:DWORD src1_sel:WORD_1
	v_mov_b32_e32 v4, 0
	s_waitcnt lgkmcnt(0)
	v_cmp_lt_u64_e64 s[2:3], s[10:11], 2
	v_mov_b32_e32 v7, v4
	s_and_b64 vcc, exec, s[2:3]
	v_mov_b64_e32 v[2:3], 0
	s_cbranch_vccnz .LBB0_8
; %bb.1:
	s_load_dwordx2 s[2:3], s[0:1], 0x10
	s_add_u32 s16, s14, 8
	s_addc_u32 s17, s15, 0
	s_add_u32 s18, s12, 8
	s_addc_u32 s19, s13, 0
	s_waitcnt lgkmcnt(0)
	s_add_u32 s20, s2, 8
	v_mov_b64_e32 v[2:3], 0
	s_addc_u32 s21, s3, 0
	s_mov_b64 s[22:23], 1
	v_mov_b64_e32 v[36:37], v[2:3]
.LBB0_2:                                ; =>This Inner Loop Header: Depth=1
	s_load_dwordx2 s[24:25], s[20:21], 0x0
                                        ; implicit-def: $vgpr40_vgpr41
	s_waitcnt lgkmcnt(0)
	v_or_b32_e32 v5, s25, v7
	v_cmp_ne_u64_e32 vcc, 0, v[4:5]
	s_and_saveexec_b64 s[2:3], vcc
	s_xor_b64 s[26:27], exec, s[2:3]
	s_cbranch_execz .LBB0_4
; %bb.3:                                ;   in Loop: Header=BB0_2 Depth=1
	v_cvt_f32_u32_e32 v1, s24
	v_cvt_f32_u32_e32 v5, s25
	s_sub_u32 s2, 0, s24
	s_subb_u32 s3, 0, s25
	v_fmac_f32_e32 v1, 0x4f800000, v5
	v_rcp_f32_e32 v1, v1
	s_nop 0
	v_mul_f32_e32 v1, 0x5f7ffffc, v1
	v_mul_f32_e32 v5, 0x2f800000, v1
	v_trunc_f32_e32 v5, v5
	v_fmac_f32_e32 v1, 0xcf800000, v5
	v_cvt_u32_f32_e32 v5, v5
	v_cvt_u32_f32_e32 v1, v1
	v_mul_lo_u32 v8, s2, v5
	v_mul_hi_u32 v10, s2, v1
	v_mul_lo_u32 v9, s3, v1
	v_add_u32_e32 v10, v10, v8
	v_mul_lo_u32 v12, s2, v1
	v_add_u32_e32 v13, v10, v9
	v_mul_hi_u32 v8, v1, v12
	v_mul_hi_u32 v11, v1, v13
	v_mul_lo_u32 v10, v1, v13
	v_mov_b32_e32 v9, v4
	v_lshl_add_u64 v[8:9], v[8:9], 0, v[10:11]
	v_mul_hi_u32 v11, v5, v12
	v_mul_lo_u32 v12, v5, v12
	v_add_co_u32_e32 v8, vcc, v8, v12
	v_mul_hi_u32 v10, v5, v13
	s_nop 0
	v_addc_co_u32_e32 v8, vcc, v9, v11, vcc
	v_mov_b32_e32 v9, v4
	s_nop 0
	v_addc_co_u32_e32 v11, vcc, 0, v10, vcc
	v_mul_lo_u32 v10, v5, v13
	v_lshl_add_u64 v[8:9], v[8:9], 0, v[10:11]
	v_add_co_u32_e32 v1, vcc, v1, v8
	v_mul_lo_u32 v10, s2, v1
	s_nop 0
	v_addc_co_u32_e32 v5, vcc, v5, v9, vcc
	v_mul_lo_u32 v8, s2, v5
	v_mul_hi_u32 v9, s2, v1
	v_add_u32_e32 v8, v9, v8
	v_mul_lo_u32 v9, s3, v1
	v_add_u32_e32 v12, v8, v9
	v_mul_hi_u32 v14, v5, v10
	v_mul_lo_u32 v15, v5, v10
	v_mul_hi_u32 v9, v1, v12
	v_mul_lo_u32 v8, v1, v12
	v_mul_hi_u32 v10, v1, v10
	v_mov_b32_e32 v11, v4
	v_lshl_add_u64 v[8:9], v[10:11], 0, v[8:9]
	v_add_co_u32_e32 v8, vcc, v8, v15
	v_mul_hi_u32 v13, v5, v12
	s_nop 0
	v_addc_co_u32_e32 v8, vcc, v9, v14, vcc
	v_mul_lo_u32 v10, v5, v12
	s_nop 0
	v_addc_co_u32_e32 v11, vcc, 0, v13, vcc
	v_mov_b32_e32 v9, v4
	v_lshl_add_u64 v[8:9], v[8:9], 0, v[10:11]
	v_add_co_u32_e32 v1, vcc, v1, v8
	v_mul_hi_u32 v10, v6, v1
	s_nop 0
	v_addc_co_u32_e32 v5, vcc, v5, v9, vcc
	v_mad_u64_u32 v[8:9], s[2:3], v6, v5, 0
	v_mov_b32_e32 v11, v4
	v_lshl_add_u64 v[8:9], v[10:11], 0, v[8:9]
	v_mad_u64_u32 v[12:13], s[2:3], v7, v1, 0
	v_add_co_u32_e32 v1, vcc, v8, v12
	v_mad_u64_u32 v[10:11], s[2:3], v7, v5, 0
	s_nop 0
	v_addc_co_u32_e32 v8, vcc, v9, v13, vcc
	v_mov_b32_e32 v9, v4
	s_nop 0
	v_addc_co_u32_e32 v11, vcc, 0, v11, vcc
	v_lshl_add_u64 v[8:9], v[8:9], 0, v[10:11]
	v_mul_lo_u32 v1, s25, v8
	v_mul_lo_u32 v5, s24, v9
	v_mad_u64_u32 v[10:11], s[2:3], s24, v8, 0
	v_add3_u32 v1, v11, v5, v1
	v_sub_u32_e32 v5, v7, v1
	v_mov_b32_e32 v11, s25
	v_sub_co_u32_e32 v14, vcc, v6, v10
	v_lshl_add_u64 v[12:13], v[8:9], 0, 1
	s_nop 0
	v_subb_co_u32_e64 v5, s[2:3], v5, v11, vcc
	v_subrev_co_u32_e64 v10, s[2:3], s24, v14
	v_subb_co_u32_e32 v1, vcc, v7, v1, vcc
	s_nop 0
	v_subbrev_co_u32_e64 v5, s[2:3], 0, v5, s[2:3]
	v_cmp_le_u32_e64 s[2:3], s25, v5
	v_cmp_le_u32_e32 vcc, s25, v1
	s_nop 0
	v_cndmask_b32_e64 v11, 0, -1, s[2:3]
	v_cmp_le_u32_e64 s[2:3], s24, v10
	s_nop 1
	v_cndmask_b32_e64 v10, 0, -1, s[2:3]
	v_cmp_eq_u32_e64 s[2:3], s25, v5
	s_nop 1
	v_cndmask_b32_e64 v5, v11, v10, s[2:3]
	v_lshl_add_u64 v[10:11], v[8:9], 0, 2
	v_cmp_ne_u32_e64 s[2:3], 0, v5
	s_nop 1
	v_cndmask_b32_e64 v5, v13, v11, s[2:3]
	v_cndmask_b32_e64 v11, 0, -1, vcc
	v_cmp_le_u32_e32 vcc, s24, v14
	s_nop 1
	v_cndmask_b32_e64 v13, 0, -1, vcc
	v_cmp_eq_u32_e32 vcc, s25, v1
	s_nop 1
	v_cndmask_b32_e32 v1, v11, v13, vcc
	v_cmp_ne_u32_e32 vcc, 0, v1
	v_cndmask_b32_e64 v1, v12, v10, s[2:3]
	s_nop 0
	v_cndmask_b32_e32 v41, v9, v5, vcc
	v_cndmask_b32_e32 v40, v8, v1, vcc
.LBB0_4:                                ;   in Loop: Header=BB0_2 Depth=1
	s_andn2_saveexec_b64 s[2:3], s[26:27]
	s_cbranch_execz .LBB0_6
; %bb.5:                                ;   in Loop: Header=BB0_2 Depth=1
	v_cvt_f32_u32_e32 v1, s24
	s_sub_i32 s26, 0, s24
	v_mov_b32_e32 v41, v4
	v_rcp_iflag_f32_e32 v1, v1
	s_nop 0
	v_mul_f32_e32 v1, 0x4f7ffffe, v1
	v_cvt_u32_f32_e32 v1, v1
	v_mul_lo_u32 v5, s26, v1
	v_mul_hi_u32 v5, v1, v5
	v_add_u32_e32 v1, v1, v5
	v_mul_hi_u32 v1, v6, v1
	v_mul_lo_u32 v5, v1, s24
	v_sub_u32_e32 v5, v6, v5
	v_add_u32_e32 v8, 1, v1
	v_subrev_u32_e32 v9, s24, v5
	v_cmp_le_u32_e32 vcc, s24, v5
	s_nop 1
	v_cndmask_b32_e32 v5, v5, v9, vcc
	v_cndmask_b32_e32 v1, v1, v8, vcc
	v_add_u32_e32 v8, 1, v1
	v_cmp_le_u32_e32 vcc, s24, v5
	s_nop 1
	v_cndmask_b32_e32 v40, v1, v8, vcc
.LBB0_6:                                ;   in Loop: Header=BB0_2 Depth=1
	s_or_b64 exec, exec, s[2:3]
	v_mad_u64_u32 v[8:9], s[2:3], v40, s24, 0
	s_load_dwordx2 s[2:3], s[18:19], 0x0
	v_mul_lo_u32 v1, v41, s24
	v_mul_lo_u32 v5, v40, s25
	s_load_dwordx2 s[24:25], s[16:17], 0x0
	s_add_u32 s22, s22, 1
	v_add3_u32 v1, v9, v5, v1
	v_sub_co_u32_e32 v5, vcc, v6, v8
	s_addc_u32 s23, s23, 0
	s_nop 0
	v_subb_co_u32_e32 v1, vcc, v7, v1, vcc
	s_add_u32 s16, s16, 8
	s_waitcnt lgkmcnt(0)
	v_mul_lo_u32 v6, s2, v1
	v_mul_lo_u32 v7, s3, v5
	v_mad_u64_u32 v[2:3], s[2:3], s2, v5, v[2:3]
	s_addc_u32 s17, s17, 0
	v_add3_u32 v3, v7, v3, v6
	v_mul_lo_u32 v1, s24, v1
	v_mul_lo_u32 v6, s25, v5
	v_mad_u64_u32 v[36:37], s[2:3], s24, v5, v[36:37]
	s_add_u32 s18, s18, 8
	v_add3_u32 v37, v6, v37, v1
	s_addc_u32 s19, s19, 0
	v_mov_b64_e32 v[6:7], s[10:11]
	s_add_u32 s20, s20, 8
	v_cmp_ge_u64_e32 vcc, s[22:23], v[6:7]
	s_addc_u32 s21, s21, 0
	s_cbranch_vccnz .LBB0_9
; %bb.7:                                ;   in Loop: Header=BB0_2 Depth=1
	v_mov_b64_e32 v[6:7], v[40:41]
	s_branch .LBB0_2
.LBB0_8:
	v_mov_b64_e32 v[36:37], v[2:3]
	v_mov_b64_e32 v[40:41], v[6:7]
.LBB0_9:
	s_load_dwordx2 s[18:19], s[0:1], 0x28
	s_lshl_b64 s[16:17], s[10:11], 3
	s_add_u32 s2, s14, s16
	s_addc_u32 s3, s15, s17
                                        ; implicit-def: $vgpr38
                                        ; implicit-def: $vgpr42
                                        ; implicit-def: $vgpr48
                                        ; implicit-def: $vgpr44
                                        ; implicit-def: $vgpr46
	s_waitcnt lgkmcnt(0)
	v_cmp_gt_u64_e64 s[0:1], s[18:19], v[40:41]
	v_cmp_le_u64_e32 vcc, s[18:19], v[40:41]
	s_and_saveexec_b64 s[10:11], vcc
	s_xor_b64 s[10:11], exec, s[10:11]
; %bb.10:
	s_mov_b32 s14, 0x147ae15
	v_mul_hi_u32 v1, v0, s14
	v_mul_u32_u24_e32 v1, 0xc8, v1
	v_sub_u32_e32 v38, v0, v1
	v_add_u32_e32 v42, 0xc8, v38
	v_add_u32_e32 v48, 0x190, v38
	;; [unrolled: 1-line block ×4, first 2 shown]
                                        ; implicit-def: $vgpr0
                                        ; implicit-def: $vgpr2_vgpr3
; %bb.11:
	s_andn2_saveexec_b64 s[10:11], s[10:11]
	s_cbranch_execz .LBB0_13
; %bb.12:
	s_add_u32 s12, s12, s16
	s_addc_u32 s13, s13, s17
	s_load_dwordx2 s[12:13], s[12:13], 0x0
	s_mov_b32 s14, 0x147ae15
	s_waitcnt lgkmcnt(0)
	v_mul_lo_u32 v1, s13, v40
	v_mul_lo_u32 v6, s12, v41
	v_mad_u64_u32 v[4:5], s[12:13], s12, v40, 0
	v_add3_u32 v5, v5, v6, v1
	v_mul_hi_u32 v1, v0, s14
	v_mul_u32_u24_e32 v1, 0xc8, v1
	v_sub_u32_e32 v38, v0, v1
	v_lshl_add_u64 v[0:1], v[4:5], 3, s[4:5]
	v_lshl_add_u64 v[0:1], v[2:3], 3, v[0:1]
	v_lshlrev_b32_e32 v2, 3, v38
	v_mov_b32_e32 v3, 0
	v_lshl_add_u64 v[0:1], v[0:1], 0, v[2:3]
	s_movk_i32 s4, 0x1000
	v_add_co_u32_e32 v4, vcc, s4, v0
	s_movk_i32 s4, 0x2000
	s_nop 0
	v_addc_co_u32_e32 v5, vcc, 0, v1, vcc
	v_add_co_u32_e32 v14, vcc, s4, v0
	s_movk_i32 s4, 0x3000
	s_nop 0
	v_addc_co_u32_e32 v15, vcc, 0, v1, vcc
	global_load_dwordx2 v[6:7], v[0:1], off
	global_load_dwordx2 v[8:9], v[0:1], off offset:1600
	global_load_dwordx2 v[10:11], v[0:1], off offset:3200
	global_load_dwordx2 v[12:13], v[4:5], off offset:704
	global_load_dwordx2 v[16:17], v[4:5], off offset:2304
	global_load_dwordx2 v[18:19], v[4:5], off offset:3904
	global_load_dwordx2 v[20:21], v[14:15], off offset:1408
	global_load_dwordx2 v[22:23], v[14:15], off offset:3008
	v_add_co_u32_e32 v4, vcc, s4, v0
	s_movk_i32 s4, 0x4000
	s_nop 0
	v_addc_co_u32_e32 v5, vcc, 0, v1, vcc
	v_add_co_u32_e32 v14, vcc, s4, v0
	s_movk_i32 s4, 0x5000
	s_nop 0
	v_addc_co_u32_e32 v15, vcc, 0, v1, vcc
	global_load_dwordx2 v[24:25], v[4:5], off offset:512
	global_load_dwordx2 v[26:27], v[4:5], off offset:2112
	;; [unrolled: 1-line block ×4, first 2 shown]
	v_add_co_u32_e32 v4, vcc, s4, v0
	v_add_u32_e32 v42, 0xc8, v38
	s_nop 0
	v_addc_co_u32_e32 v5, vcc, 0, v1, vcc
	global_load_dwordx2 v[32:33], v[14:15], off offset:2816
	global_load_dwordx2 v[34:35], v[4:5], off offset:320
	;; [unrolled: 1-line block ×4, first 2 shown]
	v_add_co_u32_e32 v4, vcc, 0x6000, v0
	v_add_u32_e32 v48, 0x190, v38
	s_nop 0
	v_addc_co_u32_e32 v5, vcc, 0, v1, vcc
	v_add_co_u32_e32 v0, vcc, 0x7000, v0
	v_add_u32_e32 v46, 0x258, v38
	s_nop 0
	v_addc_co_u32_e32 v1, vcc, 0, v1, vcc
	global_load_dwordx2 v[14:15], v[4:5], off offset:1024
	global_load_dwordx2 v[54:55], v[4:5], off offset:2624
	;; [unrolled: 1-line block ×4, first 2 shown]
	v_add_u32_e32 v0, 0, v2
	v_add_u32_e32 v44, 0x320, v38
	;; [unrolled: 1-line block ×10, first 2 shown]
	s_waitcnt vmcnt(18)
	ds_write2_b64 v0, v[6:7], v[8:9] offset1:200
	s_waitcnt vmcnt(16)
	ds_write2_b64 v1, v[10:11], v[12:13] offset0:16 offset1:216
	s_waitcnt vmcnt(14)
	ds_write2_b64 v2, v[16:17], v[18:19] offset0:32 offset1:232
	;; [unrolled: 2-line block ×3, first 2 shown]
	s_waitcnt vmcnt(10)
	ds_write2_b64 v4, v[24:25], v[26:27] offset1:200
	s_waitcnt vmcnt(8)
	ds_write2_b64 v5, v[28:29], v[30:31] offset0:16 offset1:216
	s_waitcnt vmcnt(6)
	ds_write2_b64 v39, v[32:33], v[34:35] offset0:32 offset1:232
	;; [unrolled: 2-line block ×3, first 2 shown]
	s_waitcnt vmcnt(2)
	ds_write2_b64 v45, v[14:15], v[54:55] offset1:200
	v_add_u32_e32 v0, 0x7000, v0
	s_waitcnt vmcnt(0)
	ds_write2_b64 v0, v[56:57], v[58:59] offset0:16 offset1:216
.LBB0_13:
	s_or_b64 exec, exec, s[10:11]
	v_lshlrev_b32_e32 v39, 3, v38
	v_add_u32_e32 v50, 0, v39
	v_add_u32_e32 v4, 0x1800, v50
	;; [unrolled: 1-line block ×5, first 2 shown]
	s_load_dwordx2 s[2:3], s[2:3], 0x0
	s_waitcnt lgkmcnt(0)
	s_barrier
	ds_read2_b64 v[20:23], v4 offset0:32 offset1:232
	v_add_u32_e32 v4, 0x2400, v50
	ds_read2_b64 v[28:31], v8 offset1:200
	v_add_u32_e32 v8, 0x3e00, v50
	ds_read2_b64 v[24:27], v12 offset0:32 offset1:232
	v_add_u32_e32 v12, 0x5600, v50
	ds_read2_b64 v[32:35], v16 offset1:200
	v_add_u32_e32 v16, 0x7000, v50
	v_add_u32_e32 v0, 0xc00, v50
	ds_read2_b64 v[4:7], v4 offset0:48 offset1:248
	ds_read2_b64 v[8:11], v8 offset0:16 offset1:216
	ds_read2_b64 v[12:15], v12 offset0:48 offset1:248
	ds_read2_b64 v[16:19], v16 offset0:16 offset1:216
	ds_read2_b64 v[0:3], v0 offset0:16 offset1:216
	s_waitcnt lgkmcnt(7)
	v_pk_add_f32 v[52:53], v[28:29], v[20:21] neg_lo:[0,1] neg_hi:[0,1]
	s_waitcnt lgkmcnt(5)
	v_pk_add_f32 v[54:55], v[24:25], v[32:33] neg_lo:[0,1] neg_hi:[0,1]
	s_mov_b32 s4, 0x3f737871
	v_pk_add_f32 v[56:57], v[52:53], v[54:55]
	s_waitcnt lgkmcnt(2)
	v_pk_add_f32 v[58:59], v[8:9], v[12:13] neg_lo:[0,1] neg_hi:[0,1]
	s_waitcnt lgkmcnt(1)
	v_pk_add_f32 v[52:53], v[4:5], v[16:17]
	s_mov_b32 s10, 0x3f167918
	s_waitcnt lgkmcnt(0)
	v_pk_fma_f32 v[52:53], v[52:53], 0.5, v[0:1] op_sel_hi:[1,0,1] neg_lo:[1,0,0] neg_hi:[1,0,0]
	v_pk_mul_f32 v[54:55], v[58:59], s[4:5] op_sel_hi:[1,0]
	v_pk_add_f32 v[60:61], v[8:9], v[4:5] neg_lo:[0,1] neg_hi:[0,1]
	v_pk_add_f32 v[62:63], v[12:13], v[16:17] neg_lo:[0,1] neg_hi:[0,1]
	;; [unrolled: 1-line block ×3, first 2 shown]
	v_pk_add_f32 v[60:61], v[60:61], v[62:63]
	v_pk_add_f32 v[62:63], v[52:53], v[54:55] op_sel:[0,1] op_sel_hi:[1,0] neg_lo:[0,1] neg_hi:[0,1]
	v_pk_add_f32 v[52:53], v[52:53], v[54:55] op_sel:[0,1] op_sel_hi:[1,0]
	v_pk_mul_f32 v[54:55], v[64:65], s[10:11] op_sel_hi:[1,0]
	s_mov_b32 s12, 0x3e9e377a
	v_pk_add_f32 v[66:67], v[52:53], v[54:55] op_sel:[0,1] op_sel_hi:[1,0] neg_lo:[0,1] neg_hi:[0,1]
	v_pk_add_f32 v[62:63], v[62:63], v[54:55] op_sel:[0,1] op_sel_hi:[1,0]
	v_mov_b32_e32 v53, v67
	v_mov_b32_e32 v52, v62
	v_pk_fma_f32 v[68:69], v[60:61], s[12:13], v[52:53] op_sel_hi:[1,0,1]
	ds_read2_b64 v[52:55], v50 offset1:200
	v_pk_mul_f32 v[70:71], v[68:69], s[4:5] op_sel_hi:[1,0]
	v_mov_b32_e32 v67, v63
	v_pk_fma_f32 v[72:73], v[68:69], s[12:13], v[70:71] op_sel:[0,0,1] op_sel_hi:[1,0,0]
	v_pk_fma_f32 v[68:69], v[68:69], s[12:13], v[70:71] op_sel:[0,0,1] op_sel_hi:[1,0,0] neg_lo:[0,0,1] neg_hi:[0,0,1]
	v_pk_add_f32 v[70:71], v[28:29], v[24:25] neg_lo:[0,1] neg_hi:[0,1]
	v_mov_b32_e32 v73, v69
	v_pk_add_f32 v[68:69], v[20:21], v[32:33]
	v_pk_mul_f32 v[74:75], v[70:71], s[4:5] op_sel_hi:[1,0]
	s_waitcnt lgkmcnt(0)
	v_pk_fma_f32 v[68:69], v[68:69], 0.5, v[52:53] op_sel_hi:[1,0,1] neg_lo:[1,0,0] neg_hi:[1,0,0]
	v_pk_fma_f32 v[60:61], v[60:61], s[12:13], v[66:67] op_sel_hi:[1,0,1]
	v_pk_add_f32 v[76:77], v[68:69], v[74:75] op_sel:[0,1] op_sel_hi:[1,0] neg_lo:[0,1] neg_hi:[0,1]
	v_pk_add_f32 v[68:69], v[68:69], v[74:75] op_sel:[0,1] op_sel_hi:[1,0]
	v_pk_add_f32 v[74:75], v[20:21], v[32:33] neg_lo:[0,1] neg_hi:[0,1]
	s_mov_b32 s14, 0xbf737871
	v_pk_mul_f32 v[78:79], v[74:75], s[10:11] op_sel_hi:[1,0]
	s_mov_b32 s15, s4
	v_pk_add_f32 v[68:69], v[68:69], v[78:79] op_sel:[0,1] op_sel_hi:[1,0] neg_lo:[0,1] neg_hi:[0,1]
	v_pk_add_f32 v[76:77], v[76:77], v[78:79] op_sel:[0,1] op_sel_hi:[1,0]
	v_pk_mul_f32 v[62:63], v[60:61], s[12:13] op_sel_hi:[1,0]
	s_movk_i32 s5, 0x48
	v_pk_fma_f32 v[60:61], v[60:61], s[14:15], v[62:63] op_sel:[0,0,1] op_sel_hi:[1,1,0] neg_lo:[0,0,1] neg_hi:[0,0,1]
	v_mov_b32_e32 v62, v76
	v_mov_b32_e32 v63, v69
	;; [unrolled: 1-line block ×3, first 2 shown]
	v_pk_fma_f32 v[62:63], v[56:57], s[12:13], v[62:63] op_sel_hi:[1,0,1]
	v_pk_fma_f32 v[56:57], v[56:57], s[12:13], v[68:69] op_sel_hi:[1,0,1]
	v_mad_u32_u24 v43, v38, s5, v50
	v_pk_add_f32 v[66:67], v[62:63], v[72:73]
	v_pk_add_f32 v[68:69], v[56:57], v[60:61] op_sel:[0,1] op_sel_hi:[1,0]
	s_barrier
	ds_write2_b64 v43, v[66:67], v[68:69] offset0:2 offset1:3
	v_pk_add_f32 v[66:67], v[20:21], v[28:29] neg_lo:[0,1] neg_hi:[0,1]
	v_pk_add_f32 v[68:69], v[32:33], v[24:25] neg_lo:[0,1] neg_hi:[0,1]
	v_pk_mul_f32 v[74:75], v[74:75], s[4:5] op_sel_hi:[1,0]
	v_pk_add_f32 v[66:67], v[66:67], v[68:69]
	v_pk_add_f32 v[68:69], v[28:29], v[24:25]
	v_pk_mul_f32 v[70:71], v[70:71], s[10:11] op_sel_hi:[1,0]
	v_pk_fma_f32 v[68:69], v[68:69], 0.5, v[52:53] op_sel_hi:[1,0,1] neg_lo:[1,0,0] neg_hi:[1,0,0]
	v_pk_mul_f32 v[64:65], v[64:65], s[4:5] op_sel_hi:[1,0]
	v_pk_add_f32 v[76:77], v[68:69], v[74:75] op_sel:[0,1] op_sel_hi:[1,0]
	v_pk_add_f32 v[68:69], v[68:69], v[74:75] op_sel:[0,1] op_sel_hi:[1,0] neg_lo:[0,1] neg_hi:[0,1]
	v_pk_add_f32 v[74:75], v[4:5], v[8:9] neg_lo:[0,1] neg_hi:[0,1]
	v_pk_add_f32 v[68:69], v[68:69], v[70:71] op_sel:[0,1] op_sel_hi:[1,0] neg_lo:[0,1] neg_hi:[0,1]
	v_pk_add_f32 v[70:71], v[76:77], v[70:71] op_sel:[0,1] op_sel_hi:[1,0]
	v_pk_add_f32 v[76:77], v[16:17], v[12:13] neg_lo:[0,1] neg_hi:[0,1]
	v_pk_mul_f32 v[58:59], v[58:59], s[10:11] op_sel_hi:[1,0]
	v_pk_add_f32 v[74:75], v[74:75], v[76:77]
	v_pk_add_f32 v[76:77], v[8:9], v[12:13]
	s_mov_b32 s16, 0x3f4f1bbd
	v_pk_fma_f32 v[76:77], v[76:77], 0.5, v[0:1] op_sel_hi:[1,0,1] neg_lo:[1,0,0] neg_hi:[1,0,0]
	v_pk_add_f32 v[20:21], v[52:53], v[20:21]
	v_pk_add_f32 v[78:79], v[76:77], v[64:65] op_sel:[0,1] op_sel_hi:[1,0]
	v_pk_add_f32 v[64:65], v[76:77], v[64:65] op_sel:[0,1] op_sel_hi:[1,0] neg_lo:[0,1] neg_hi:[0,1]
	v_pk_add_f32 v[76:77], v[58:59], v[78:79] op_sel:[1,0] op_sel_hi:[0,1]
	v_pk_add_f32 v[58:59], v[64:65], v[58:59] op_sel:[0,1] op_sel_hi:[1,0] neg_lo:[0,1] neg_hi:[0,1]
	v_pk_add_f32 v[0:1], v[0:1], v[4:5]
	v_pk_fma_f32 v[64:65], v[74:75], s[12:13], v[58:59] op_sel_hi:[1,0,1]
	v_mov_b32_e32 v59, v77
	v_pk_fma_f32 v[58:59], v[74:75], s[12:13], v[58:59] op_sel_hi:[1,0,1]
	v_pk_fma_f32 v[76:77], v[74:75], s[12:13], v[76:77] op_sel_hi:[1,0,1]
	v_pk_mul_f32 v[74:75], v[58:59], s[16:17] op_sel_hi:[1,0]
	s_mov_b32 s17, s10
	v_pk_mul_f32 v[76:77], v[76:77], s[16:17] op_sel_hi:[0,1]
	s_mov_b32 s11, s16
	v_pk_add_f32 v[20:21], v[20:21], v[28:29]
	v_pk_add_f32 v[0:1], v[0:1], v[8:9]
	v_pk_fma_f32 v[78:79], v[64:65], s[10:11], v[76:77] op_sel:[1,0,0]
	v_pk_fma_f32 v[64:65], v[64:65], s[10:11], v[76:77] op_sel:[1,0,0] neg_lo:[0,0,1] neg_hi:[0,0,1]
	v_pk_add_f32 v[20:21], v[20:21], v[24:25]
	v_pk_add_f32 v[0:1], v[0:1], v[12:13]
	v_mov_b32_e32 v4, v70
	v_mov_b32_e32 v5, v69
	;; [unrolled: 1-line block ×3, first 2 shown]
	v_pk_add_f32 v[20:21], v[20:21], v[32:33]
	v_pk_add_f32 v[0:1], v[0:1], v[16:17]
	v_pk_fma_f32 v[4:5], v[66:67], s[12:13], v[4:5] op_sel_hi:[1,0,1]
	v_pk_add_f32 v[8:9], v[20:21], v[0:1]
	v_pk_add_f32 v[12:13], v[4:5], v[78:79]
	v_mov_b32_e32 v69, v71
	s_mov_b32 s18, 0xbf167918
	s_mov_b32 s19, s10
	ds_write2_b64 v43, v[8:9], v[12:13] offset1:1
	v_pk_fma_f32 v[8:9], v[66:67], s[12:13], v[68:69] op_sel_hi:[1,0,1]
	v_pk_fma_f32 v[12:13], v[58:59], s[18:19], v[74:75] op_sel:[0,0,1] op_sel_hi:[1,1,0] neg_lo:[0,0,1] neg_hi:[0,0,1]
	v_pk_add_f32 v[0:1], v[20:21], v[0:1] neg_lo:[0,1] neg_hi:[0,1]
	v_pk_add_f32 v[16:17], v[8:9], v[12:13] op_sel:[1,0] op_sel_hi:[0,1]
	v_mov_b32_e32 v20, v17
	v_mov_b32_e32 v21, v16
	ds_write2_b64 v43, v[20:21], v[0:1] offset0:4 offset1:5
	v_pk_add_f32 v[0:1], v[4:5], v[78:79] neg_lo:[0,1] neg_hi:[0,1]
	v_pk_add_f32 v[4:5], v[62:63], v[72:73] neg_lo:[0,1] neg_hi:[0,1]
	ds_write2_b64 v43, v[0:1], v[4:5] offset0:6 offset1:7
	v_pk_add_f32 v[4:5], v[8:9], v[12:13] op_sel:[1,0] op_sel_hi:[0,1] neg_lo:[0,1] neg_hi:[0,1]
	v_mov_b32_e32 v8, v5
	v_mov_b32_e32 v9, v4
	v_pk_add_f32 v[4:5], v[54:55], v[22:23]
	v_pk_add_f32 v[0:1], v[56:57], v[60:61] op_sel:[0,1] op_sel_hi:[1,0] neg_lo:[0,1] neg_hi:[0,1]
	v_pk_add_f32 v[4:5], v[4:5], v[30:31]
	ds_write2_b64 v43, v[0:1], v[8:9] offset0:8 offset1:9
	v_pk_add_f32 v[4:5], v[4:5], v[26:27]
	v_pk_add_f32 v[0:1], v[30:31], v[26:27]
	v_pk_add_f32 v[8:9], v[30:31], v[26:27] neg_lo:[0,1] neg_hi:[0,1]
	v_pk_add_f32 v[16:17], v[30:31], v[22:23] neg_lo:[0,1] neg_hi:[0,1]
	v_pk_add_f32 v[24:25], v[34:35], v[26:27] neg_lo:[0,1] neg_hi:[0,1]
	v_pk_add_f32 v[26:27], v[26:27], v[34:35] neg_lo:[0,1] neg_hi:[0,1]
	v_pk_add_f32 v[12:13], v[22:23], v[30:31] neg_lo:[0,1] neg_hi:[0,1]
	v_pk_add_f32 v[26:27], v[16:17], v[26:27]
	v_pk_add_f32 v[30:31], v[10:11], v[14:15] neg_lo:[0,1] neg_hi:[0,1]
	v_pk_add_f32 v[16:17], v[6:7], v[18:19]
	v_pk_add_f32 v[4:5], v[4:5], v[34:35]
	v_pk_add_f32 v[20:21], v[22:23], v[34:35] neg_lo:[0,1] neg_hi:[0,1]
	v_pk_add_f32 v[22:23], v[22:23], v[34:35]
	v_pk_add_f32 v[28:29], v[6:7], v[18:19] neg_lo:[0,1] neg_hi:[0,1]
	v_pk_fma_f32 v[16:17], v[16:17], 0.5, v[2:3] op_sel_hi:[1,0,1] neg_lo:[1,0,0] neg_hi:[1,0,0]
	v_pk_mul_f32 v[32:33], v[30:31], s[4:5] op_sel_hi:[1,0]
	v_pk_add_f32 v[34:35], v[10:11], v[6:7] neg_lo:[0,1] neg_hi:[0,1]
	v_pk_add_f32 v[52:53], v[14:15], v[18:19] neg_lo:[0,1] neg_hi:[0,1]
	v_pk_fma_f32 v[0:1], v[0:1], 0.5, v[54:55] op_sel_hi:[1,0,1] neg_lo:[1,0,0] neg_hi:[1,0,0]
	v_pk_add_f32 v[34:35], v[34:35], v[52:53]
	v_pk_add_f32 v[52:53], v[16:17], v[32:33] op_sel:[0,1] op_sel_hi:[1,0] neg_lo:[0,1] neg_hi:[0,1]
	v_pk_add_f32 v[16:17], v[16:17], v[32:33] op_sel:[0,1] op_sel_hi:[1,0]
	v_pk_mul_f32 v[32:33], v[28:29], s[10:11] op_sel_hi:[1,0]
	v_pk_fma_f32 v[22:23], v[22:23], 0.5, v[54:55] op_sel_hi:[1,0,1] neg_lo:[1,0,0] neg_hi:[1,0,0]
	v_pk_add_f32 v[16:17], v[16:17], v[32:33] op_sel:[0,1] op_sel_hi:[1,0] neg_lo:[0,1] neg_hi:[0,1]
	v_pk_add_f32 v[32:33], v[52:53], v[32:33] op_sel:[0,1] op_sel_hi:[1,0]
	v_mov_b32_e32 v53, v17
	v_mov_b32_e32 v52, v32
	v_pk_fma_f32 v[52:53], v[34:35], s[12:13], v[52:53] op_sel_hi:[1,0,1]
	v_mov_b32_e32 v17, v33
	v_pk_mul_f32 v[54:55], v[52:53], s[4:5] op_sel_hi:[1,0]
	v_pk_fma_f32 v[16:17], v[34:35], s[12:13], v[16:17] op_sel_hi:[1,0,1]
	v_pk_fma_f32 v[56:57], v[52:53], s[12:13], v[54:55] op_sel:[0,0,1] op_sel_hi:[1,0,0]
	v_pk_fma_f32 v[52:53], v[52:53], s[12:13], v[54:55] op_sel:[0,0,1] op_sel_hi:[1,0,0] neg_lo:[0,0,1] neg_hi:[0,0,1]
	v_pk_mul_f32 v[32:33], v[16:17], s[12:13] op_sel_hi:[1,0]
	v_mov_b32_e32 v57, v53
	v_pk_mul_f32 v[52:53], v[8:9], s[4:5] op_sel_hi:[1,0]
	v_pk_fma_f32 v[32:33], v[16:17], s[14:15], v[32:33] op_sel:[0,0,1] op_sel_hi:[1,1,0] neg_lo:[0,0,1] neg_hi:[0,0,1]
	v_pk_add_f32 v[54:55], v[22:23], v[52:53] op_sel:[0,1] op_sel_hi:[1,0] neg_lo:[0,1] neg_hi:[0,1]
	v_pk_add_f32 v[22:23], v[22:23], v[52:53] op_sel:[0,1] op_sel_hi:[1,0]
	v_pk_mul_f32 v[52:53], v[20:21], s[10:11] op_sel_hi:[1,0]
	v_mul_i32_i24_e32 v16, 10, v42
	v_pk_add_f32 v[22:23], v[22:23], v[52:53] op_sel:[0,1] op_sel_hi:[1,0] neg_lo:[0,1] neg_hi:[0,1]
	v_pk_add_f32 v[52:53], v[54:55], v[52:53] op_sel:[0,1] op_sel_hi:[1,0]
	v_mov_b32_e32 v35, v23
	v_mov_b32_e32 v34, v52
	;; [unrolled: 1-line block ×3, first 2 shown]
	v_pk_fma_f32 v[34:35], v[26:27], s[12:13], v[34:35] op_sel_hi:[1,0,1]
	v_pk_fma_f32 v[22:23], v[26:27], s[12:13], v[22:23] op_sel_hi:[1,0,1]
	v_pk_mul_f32 v[20:21], v[20:21], s[4:5] op_sel_hi:[1,0]
	v_lshl_add_u32 v16, v16, 3, 0
	v_pk_add_f32 v[26:27], v[34:35], v[56:57]
	v_pk_add_f32 v[52:53], v[22:23], v[32:33] op_sel:[0,1] op_sel_hi:[1,0]
	v_pk_add_f32 v[12:13], v[12:13], v[24:25]
	v_pk_add_f32 v[24:25], v[0:1], v[20:21] op_sel:[0,1] op_sel_hi:[1,0]
	v_pk_add_f32 v[0:1], v[0:1], v[20:21] op_sel:[0,1] op_sel_hi:[1,0] neg_lo:[0,1] neg_hi:[0,1]
	v_pk_mul_f32 v[8:9], v[8:9], s[10:11] op_sel_hi:[1,0]
	ds_write2_b64 v16, v[26:27], v[52:53] offset0:2 offset1:3
	v_pk_add_f32 v[26:27], v[2:3], v[6:7]
	v_pk_add_f32 v[0:1], v[0:1], v[8:9] op_sel:[0,1] op_sel_hi:[1,0] neg_lo:[0,1] neg_hi:[0,1]
	v_pk_add_f32 v[8:9], v[24:25], v[8:9] op_sel:[0,1] op_sel_hi:[1,0]
	v_pk_add_f32 v[24:25], v[10:11], v[14:15]
	v_pk_add_f32 v[26:27], v[26:27], v[10:11]
	v_pk_fma_f32 v[2:3], v[24:25], 0.5, v[2:3] op_sel_hi:[1,0,1] neg_lo:[1,0,0] neg_hi:[1,0,0]
	v_mov_b32_e32 v24, v8
	v_mov_b32_e32 v25, v1
	v_pk_add_f32 v[6:7], v[6:7], v[10:11] neg_lo:[0,1] neg_hi:[0,1]
	v_pk_add_f32 v[10:11], v[18:19], v[14:15] neg_lo:[0,1] neg_hi:[0,1]
	v_mov_b32_e32 v1, v9
	v_pk_mul_f32 v[8:9], v[28:29], s[4:5] op_sel_hi:[1,0]
	v_pk_fma_f32 v[24:25], v[12:13], s[12:13], v[24:25] op_sel_hi:[1,0,1]
	v_pk_add_f32 v[6:7], v[6:7], v[10:11]
	v_pk_fma_f32 v[0:1], v[12:13], s[12:13], v[0:1] op_sel_hi:[1,0,1]
	v_pk_add_f32 v[10:11], v[2:3], v[8:9] op_sel:[0,1] op_sel_hi:[1,0]
	v_pk_mul_f32 v[12:13], v[30:31], s[10:11] op_sel_hi:[1,0]
	v_pk_add_f32 v[2:3], v[2:3], v[8:9] op_sel:[0,1] op_sel_hi:[1,0] neg_lo:[0,1] neg_hi:[0,1]
	v_pk_add_f32 v[10:11], v[12:13], v[10:11] op_sel:[1,0] op_sel_hi:[0,1]
	v_pk_add_f32 v[2:3], v[2:3], v[12:13] op_sel:[0,1] op_sel_hi:[1,0] neg_lo:[0,1] neg_hi:[0,1]
	v_pk_add_f32 v[26:27], v[26:27], v[14:15]
	v_pk_fma_f32 v[8:9], v[6:7], s[12:13], v[2:3] op_sel_hi:[1,0,1]
	v_mov_b32_e32 v3, v11
	v_pk_fma_f32 v[2:3], v[6:7], s[12:13], v[2:3] op_sel_hi:[1,0,1]
	v_pk_fma_f32 v[14:15], v[6:7], s[12:13], v[10:11] op_sel_hi:[1,0,1]
	v_pk_mul_f32 v[6:7], v[2:3], s[16:17] op_sel_hi:[1,0]
	s_movk_i32 s5, 0xcd
	v_pk_fma_f32 v[2:3], v[2:3], s[18:19], v[6:7] op_sel:[0,0,1] op_sel_hi:[1,1,0] neg_lo:[0,0,1] neg_hi:[0,0,1]
	v_pk_mul_f32 v[6:7], v[14:15], s[16:17] op_sel_hi:[0,1]
	v_pk_fma_f32 v[10:11], v[8:9], s[10:11], v[6:7] op_sel:[1,0,0]
	v_pk_fma_f32 v[6:7], v[8:9], s[10:11], v[6:7] op_sel:[1,0,0] neg_lo:[0,0,1] neg_hi:[0,0,1]
	v_pk_add_f32 v[8:9], v[0:1], v[2:3] op_sel:[1,0] op_sel_hi:[0,1]
	v_pk_add_f32 v[0:1], v[0:1], v[2:3] op_sel:[1,0] op_sel_hi:[0,1] neg_lo:[0,1] neg_hi:[0,1]
	v_mov_b32_e32 v3, v0
	v_mul_lo_u16_sdwa v0, v38, s5 dst_sel:DWORD dst_unused:UNUSED_PAD src0_sel:BYTE_0 src1_sel:DWORD
	s_mov_b32 s5, 0xcccd
	v_mov_b32_e32 v2, v1
	v_mul_u32_u24_sdwa v1, v42, s5 dst_sel:DWORD dst_unused:UNUSED_PAD src0_sel:WORD_0 src1_sel:DWORD
	v_pk_add_f32 v[26:27], v[26:27], v[18:19]
	v_mov_b32_e32 v11, v7
	v_lshrrev_b32_e32 v14, 19, v1
	v_pk_add_f32 v[20:21], v[4:5], v[26:27]
	v_pk_add_f32 v[6:7], v[24:25], v[10:11]
	v_mul_lo_u16_e32 v1, 10, v14
	ds_write2_b64 v16, v[20:21], v[6:7] offset1:1
	v_pk_add_f32 v[4:5], v[4:5], v[26:27] neg_lo:[0,1] neg_hi:[0,1]
	v_mov_b32_e32 v6, v9
	v_mov_b32_e32 v7, v8
	v_sub_u16_e32 v15, v42, v1
	ds_write2_b64 v16, v[6:7], v[4:5] offset0:4 offset1:5
	v_pk_add_f32 v[4:5], v[24:25], v[10:11] neg_lo:[0,1] neg_hi:[0,1]
	v_pk_add_f32 v[6:7], v[34:35], v[56:57] neg_lo:[0,1] neg_hi:[0,1]
	v_mul_u32_u24_e32 v1, 9, v15
	ds_write2_b64 v16, v[4:5], v[6:7] offset0:6 offset1:7
	v_pk_add_f32 v[4:5], v[22:23], v[32:33] op_sel:[0,1] op_sel_hi:[1,0] neg_lo:[0,1] neg_hi:[0,1]
	v_lshlrev_b32_e32 v43, 3, v1
	ds_write2_b64 v16, v[4:5], v[2:3] offset0:8 offset1:9
	s_waitcnt lgkmcnt(0)
	s_barrier
	global_load_dwordx4 v[8:11], v43, s[8:9]
	v_lshrrev_b16_e32 v45, 11, v0
	v_mul_lo_u16_e32 v0, 10, v45
	v_sub_u16_e32 v47, v38, v0
	v_mov_b32_e32 v0, 9
	v_mul_u32_u24_sdwa v0, v47, v0 dst_sel:DWORD dst_unused:UNUSED_PAD src0_sel:BYTE_0 src1_sel:DWORD
	v_lshlrev_b32_e32 v12, 3, v0
	global_load_dwordx4 v[4:7], v12, s[8:9]
	global_load_dwordx4 v[0:3], v12, s[8:9] offset:16
	global_load_dwordx4 v[26:29], v43, s[8:9] offset:16
	;; [unrolled: 1-line block ×5, first 2 shown]
	v_add_u32_e32 v19, 0x1e00, v50
	ds_read_b64 v[34:35], v50 offset:4800
	ds_read2_b64 v[22:25], v19 offset0:40 offset1:240
	global_load_dwordx2 v[66:67], v12, s[8:9] offset:64
	v_lshl_add_u32 v18, v48, 3, 0
	v_lshl_add_u32 v17, v44, 3, 0
	ds_read_b64 v[60:61], v18
	ds_read_b64 v[68:69], v50 offset:30400
	ds_read_b64 v[70:71], v50
	s_movk_i32 s5, 0xffb8
	v_mad_i32_i24 v20, v42, s5, v16
	v_add_u32_e32 v21, 0x2b00, v50
	v_mul_u32_u24_e32 v14, 0x320, v14
	v_lshlrev_b32_e32 v15, 3, v15
	s_waitcnt vmcnt(7) lgkmcnt(4)
	v_pk_mul_f32 v[62:63], v[34:35], v[8:9] op_sel:[0,1]
	s_nop 0
	v_pk_fma_f32 v[12:13], v[34:35], v[8:9], v[62:63] op_sel:[0,0,1] op_sel_hi:[1,1,0] neg_lo:[0,0,1] neg_hi:[0,0,1]
	v_pk_fma_f32 v[34:35], v[34:35], v[8:9], v[62:63] op_sel:[0,0,1] op_sel_hi:[1,0,0]
	v_mov_b32_e32 v8, v11
	s_waitcnt lgkmcnt(3)
	v_pk_mul_f32 v[62:63], v[22:23], v[8:9] op_sel_hi:[1,0]
	v_mov_b32_e32 v13, v35
	v_pk_fma_f32 v[8:9], v[22:23], v[10:11], v[62:63] op_sel:[0,0,1] op_sel_hi:[1,1,0] neg_lo:[0,0,1] neg_hi:[0,0,1]
	v_pk_fma_f32 v[10:11], v[22:23], v[10:11], v[62:63] op_sel:[0,0,1] op_sel_hi:[1,0,0]
	ds_read_b64 v[62:63], v17
	s_waitcnt vmcnt(6) lgkmcnt(3)
	v_pk_mul_f32 v[22:23], v[4:5], v[60:61] op_sel:[0,1]
	v_mul_u32_u24_e32 v9, 0x320, v45
	v_pk_fma_f32 v[72:73], v[4:5], v[60:61], v[22:23] op_sel:[0,0,1] op_sel_hi:[1,1,0] neg_lo:[0,0,1] neg_hi:[0,0,1]
	v_pk_fma_f32 v[74:75], v[4:5], v[60:61], v[22:23] op_sel:[0,0,1] op_sel_hi:[1,0,0]
	ds_read_b64 v[4:5], v20
	s_waitcnt lgkmcnt(1)
	v_pk_mul_f32 v[22:23], v[6:7], v[62:63] op_sel:[0,1]
	v_mov_b32_e32 v73, v75
	v_pk_fma_f32 v[76:77], v[6:7], v[62:63], v[22:23] op_sel:[0,0,1] op_sel_hi:[1,1,0] neg_lo:[0,0,1] neg_hi:[0,0,1]
	v_pk_fma_f32 v[6:7], v[6:7], v[62:63], v[22:23] op_sel:[0,0,1] op_sel_hi:[1,0,0]
	ds_read2_b64 v[60:63], v21 offset0:24 offset1:224
	s_waitcnt vmcnt(5)
	v_pk_mul_f32 v[22:23], v[0:1], v[24:25] op_sel:[0,1]
	v_mov_b32_e32 v77, v7
	v_pk_fma_f32 v[78:79], v[0:1], v[24:25], v[22:23] op_sel:[0,0,1] op_sel_hi:[1,1,0] neg_lo:[0,0,1] neg_hi:[0,0,1]
	v_pk_fma_f32 v[80:81], v[0:1], v[24:25], v[22:23] op_sel:[0,0,1] op_sel_hi:[1,0,0]
	v_mov_b32_e32 v0, v3
	s_waitcnt lgkmcnt(0)
	v_pk_mul_f32 v[0:1], v[62:63], v[0:1] op_sel_hi:[1,0]
	v_add_u32_e32 v24, 0x3800, v50
	v_pk_fma_f32 v[82:83], v[62:63], v[2:3], v[0:1] op_sel:[0,0,1] op_sel_hi:[1,1,0] neg_lo:[0,0,1] neg_hi:[0,0,1]
	v_pk_fma_f32 v[2:3], v[62:63], v[2:3], v[0:1] op_sel:[0,0,1] op_sel_hi:[1,0,0]
	ds_read2_b64 v[62:65], v24 offset0:8 offset1:208
	s_waitcnt vmcnt(4)
	v_pk_mul_f32 v[22:23], v[60:61], v[26:27] op_sel:[0,1]
	v_mov_b32_e32 v2, v29
	v_pk_fma_f32 v[0:1], v[60:61], v[26:27], v[22:23] op_sel:[0,0,1] op_sel_hi:[1,1,0] neg_lo:[0,0,1] neg_hi:[0,0,1]
	v_pk_fma_f32 v[60:61], v[60:61], v[26:27], v[22:23] op_sel:[0,0,1] op_sel_hi:[1,0,0]
	s_waitcnt lgkmcnt(0)
	v_pk_mul_f32 v[22:23], v[62:63], v[2:3] op_sel_hi:[1,0]
	s_waitcnt vmcnt(3)
	v_pk_mul_f32 v[86:87], v[64:65], v[30:31] op_sel:[0,1]
	v_pk_fma_f32 v[84:85], v[62:63], v[28:29], v[22:23] op_sel:[0,0,1] op_sel_hi:[1,1,0] neg_lo:[0,0,1] neg_hi:[0,0,1]
	v_pk_fma_f32 v[62:63], v[62:63], v[28:29], v[22:23] op_sel:[0,0,1] op_sel_hi:[1,0,0]
	v_add_u32_e32 v23, 0x4400, v50
	ds_read2_b64 v[26:29], v23 offset0:24 offset1:224
	v_mov_b32_e32 v2, v33
	v_pk_fma_f32 v[88:89], v[64:65], v[30:31], v[86:87] op_sel:[0,0,1] op_sel_hi:[1,1,0] neg_lo:[0,0,1] neg_hi:[0,0,1]
	v_pk_fma_f32 v[64:65], v[64:65], v[30:31], v[86:87] op_sel:[0,0,1] op_sel_hi:[1,0,0]
	v_add_u32_e32 v22, 0x5d00, v50
	s_waitcnt lgkmcnt(0)
	v_pk_mul_f32 v[30:31], v[28:29], v[2:3] op_sel_hi:[1,0]
	s_waitcnt vmcnt(2)
	v_mov_b32_e32 v2, v55
	v_pk_fma_f32 v[86:87], v[28:29], v[32:33], v[30:31] op_sel:[0,0,1] op_sel_hi:[1,1,0] neg_lo:[0,0,1] neg_hi:[0,0,1]
	v_pk_fma_f32 v[90:91], v[28:29], v[32:33], v[30:31] op_sel:[0,0,1] op_sel_hi:[1,0,0]
	v_pk_mul_f32 v[28:29], v[26:27], v[52:53] op_sel:[0,1]
	v_add_u32_e32 v25, 0x6a00, v50
	v_pk_fma_f32 v[92:93], v[26:27], v[52:53], v[28:29] op_sel:[0,0,1] op_sel_hi:[1,1,0] neg_lo:[0,0,1] neg_hi:[0,0,1]
	v_pk_fma_f32 v[26:27], v[26:27], v[52:53], v[28:29] op_sel:[0,0,1] op_sel_hi:[1,0,0]
	v_mov_b32_e32 v83, v3
	v_add_u32_e32 v26, 0x5000, v50
	ds_read2_b64 v[28:31], v26 offset0:40 offset1:240
	v_mov_b32_e32 v87, v91
	v_mov_b32_e32 v79, v81
	v_mov_b32_e32 v89, v65
	v_mov_b32_e32 v1, 3
	s_waitcnt lgkmcnt(0)
	v_pk_mul_f32 v[32:33], v[28:29], v[2:3] op_sel_hi:[1,0]
	s_waitcnt vmcnt(1)
	v_mov_b32_e32 v2, v59
	v_pk_fma_f32 v[52:53], v[28:29], v[54:55], v[32:33] op_sel:[0,0,1] op_sel_hi:[1,1,0] neg_lo:[0,0,1] neg_hi:[0,0,1]
	v_pk_fma_f32 v[54:55], v[28:29], v[54:55], v[32:33] op_sel:[0,0,1] op_sel_hi:[1,0,0]
	v_pk_mul_f32 v[28:29], v[30:31], v[56:57] op_sel:[0,1]
	v_lshlrev_b32_sdwa v1, v1, v47 dst_sel:DWORD dst_unused:UNUSED_PAD src0_sel:DWORD src1_sel:BYTE_0
	v_pk_fma_f32 v[94:95], v[30:31], v[56:57], v[28:29] op_sel:[0,0,1] op_sel_hi:[1,1,0] neg_lo:[0,0,1] neg_hi:[0,0,1]
	v_pk_fma_f32 v[56:57], v[30:31], v[56:57], v[28:29] op_sel:[0,0,1] op_sel_hi:[1,0,0]
	ds_read2_b64 v[28:31], v22 offset0:24 offset1:224
	v_mov_b32_e32 v95, v57
	v_mov_b32_e32 v85, v63
	;; [unrolled: 1-line block ×4, first 2 shown]
	s_waitcnt lgkmcnt(0)
	v_pk_mul_f32 v[32:33], v[30:31], v[2:3] op_sel_hi:[1,0]
	v_add3_u32 v27, 0, v14, v15
	v_pk_fma_f32 v[96:97], v[30:31], v[58:59], v[32:33] op_sel:[0,0,1] op_sel_hi:[1,1,0] neg_lo:[0,0,1] neg_hi:[0,0,1]
	v_pk_fma_f32 v[58:59], v[30:31], v[58:59], v[32:33] op_sel:[0,0,1] op_sel_hi:[1,0,0]
	global_load_dwordx2 v[98:99], v43, s[8:9] offset:64
	global_load_dwordx4 v[30:33], v43, s[8:9] offset:48
	v_mov_b32_e32 v97, v59
	v_pk_add_f32 v[6:7], v[96:97], v[86:87] neg_lo:[0,1] neg_hi:[0,1]
	s_waitcnt vmcnt(0)
	v_pk_mul_f32 v[100:101], v[28:29], v[30:31] op_sel:[0,1]
	s_nop 0
	v_pk_fma_f32 v[102:103], v[28:29], v[30:31], v[100:101] op_sel:[0,0,1] op_sel_hi:[1,1,0] neg_lo:[0,0,1] neg_hi:[0,0,1]
	v_pk_fma_f32 v[100:101], v[28:29], v[30:31], v[100:101] op_sel:[0,0,1] op_sel_hi:[1,0,0]
	ds_read2_b64 v[28:31], v25 offset0:8 offset1:208
	v_mov_b32_e32 v2, v33
	s_waitcnt lgkmcnt(0)
	s_barrier
	v_pk_mul_f32 v[104:105], v[28:29], v[2:3] op_sel_hi:[1,0]
	v_pk_add_f32 v[2:3], v[76:77], v[82:83] neg_lo:[0,1] neg_hi:[0,1]
	v_pk_fma_f32 v[106:107], v[28:29], v[32:33], v[104:105] op_sel:[0,0,1] op_sel_hi:[1,1,0] neg_lo:[0,0,1] neg_hi:[0,0,1]
	v_pk_fma_f32 v[28:29], v[28:29], v[32:33], v[104:105] op_sel:[0,0,1] op_sel_hi:[1,0,0]
	v_pk_mul_f32 v[32:33], v[30:31], v[66:67] op_sel:[0,1]
	v_pk_add_f32 v[2:3], v[2:3], v[6:7]
	v_pk_fma_f32 v[104:105], v[30:31], v[66:67], v[32:33] op_sel:[0,0,1] op_sel_hi:[1,1,0] neg_lo:[0,0,1] neg_hi:[0,0,1]
	v_pk_fma_f32 v[30:31], v[30:31], v[66:67], v[32:33] op_sel:[0,0,1] op_sel_hi:[1,0,0]
	v_pk_add_f32 v[6:7], v[82:83], v[86:87]
	v_mov_b32_e32 v105, v31
	v_pk_add_f32 v[30:31], v[76:77], v[96:97] neg_lo:[0,1] neg_hi:[0,1]
	v_pk_fma_f32 v[6:7], v[6:7], 0.5, v[70:71] op_sel_hi:[1,0,1] neg_lo:[1,0,0] neg_hi:[1,0,0]
	v_pk_mul_f32 v[56:57], v[30:31], s[4:5] op_sel_hi:[1,0]
	v_pk_mul_f32 v[32:33], v[68:69], v[98:99] op_sel:[0,1]
	v_pk_add_f32 v[58:59], v[6:7], v[56:57] op_sel:[0,1] op_sel_hi:[1,0]
	v_pk_add_f32 v[6:7], v[6:7], v[56:57] op_sel:[0,1] op_sel_hi:[1,0] neg_lo:[0,1] neg_hi:[0,1]
	v_pk_add_f32 v[56:57], v[82:83], v[86:87] neg_lo:[0,1] neg_hi:[0,1]
	v_pk_fma_f32 v[66:67], v[68:69], v[98:99], v[32:33] op_sel:[0,0,1] op_sel_hi:[1,1,0] neg_lo:[0,0,1] neg_hi:[0,0,1]
	v_pk_mul_f32 v[64:65], v[56:57], s[10:11] op_sel_hi:[1,0]
	v_pk_fma_f32 v[32:33], v[68:69], v[98:99], v[32:33] op_sel:[0,0,1] op_sel_hi:[1,0,0]
	v_pk_add_f32 v[6:7], v[6:7], v[64:65] op_sel:[0,1] op_sel_hi:[1,0] neg_lo:[0,1] neg_hi:[0,1]
	v_pk_add_f32 v[58:59], v[58:59], v[64:65] op_sel:[0,1] op_sel_hi:[1,0]
	v_pk_add_f32 v[64:65], v[78:79], v[88:89] neg_lo:[0,1] neg_hi:[0,1]
	v_pk_add_f32 v[68:69], v[104:105], v[94:95] neg_lo:[0,1] neg_hi:[0,1]
	;; [unrolled: 1-line block ×3, first 2 shown]
	v_pk_add_f32 v[64:65], v[64:65], v[68:69]
	v_pk_add_f32 v[68:69], v[88:89], v[94:95]
	v_pk_mul_f32 v[80:81], v[74:75], s[4:5] op_sel_hi:[1,0]
	v_pk_fma_f32 v[68:69], v[68:69], 0.5, v[72:73] op_sel_hi:[1,0,1] neg_lo:[1,0,0] neg_hi:[1,0,0]
	v_mov_b32_e32 v112, v58
	v_pk_add_f32 v[90:91], v[68:69], v[80:81] op_sel:[0,1] op_sel_hi:[1,0]
	v_pk_add_f32 v[68:69], v[68:69], v[80:81] op_sel:[0,1] op_sel_hi:[1,0] neg_lo:[0,1] neg_hi:[0,1]
	v_pk_add_f32 v[80:81], v[88:89], v[94:95] neg_lo:[0,1] neg_hi:[0,1]
	v_mov_b32_e32 v113, v7
	v_pk_mul_f32 v[98:99], v[80:81], s[10:11] op_sel_hi:[1,0]
	v_pk_fma_f32 v[112:113], v[2:3], s[12:13], v[112:113] op_sel_hi:[1,0,1]
	v_pk_add_f32 v[68:69], v[68:69], v[98:99] op_sel:[0,1] op_sel_hi:[1,0] neg_lo:[0,1] neg_hi:[0,1]
	v_pk_add_f32 v[90:91], v[90:91], v[98:99] op_sel:[0,1] op_sel_hi:[1,0]
	v_mov_b32_e32 v99, v69
	v_mov_b32_e32 v98, v90
	v_pk_fma_f32 v[98:99], v[64:65], s[12:13], v[98:99] op_sel_hi:[1,0,1]
	v_add3_u32 v32, 0, v9, v1
	v_pk_mul_f32 v[108:109], v[98:99], s[10:11] op_sel_hi:[1,0]
	v_pk_mul_f32 v[56:57], v[56:57], s[4:5] op_sel_hi:[1,0]
	v_pk_fma_f32 v[110:111], v[98:99], s[16:17], v[108:109] op_sel:[0,0,1] op_sel_hi:[1,0,0]
	v_pk_fma_f32 v[98:99], v[98:99], s[16:17], v[108:109] op_sel:[0,0,1] op_sel_hi:[1,0,0] neg_lo:[0,0,1] neg_hi:[0,0,1]
	v_pk_add_f32 v[108:109], v[72:73], v[78:79]
	v_mov_b32_e32 v111, v99
	v_pk_add_f32 v[98:99], v[70:71], v[76:77]
	v_pk_add_f32 v[108:109], v[108:109], v[88:89]
	;; [unrolled: 1-line block ×9, first 2 shown]
	ds_write2_b64 v32, v[114:115], v[116:117] offset1:10
	v_pk_add_f32 v[114:115], v[76:77], v[96:97]
	v_pk_add_f32 v[76:77], v[82:83], v[76:77] neg_lo:[0,1] neg_hi:[0,1]
	v_pk_add_f32 v[82:83], v[86:87], v[96:97] neg_lo:[0,1] neg_hi:[0,1]
	v_pk_fma_f32 v[70:71], v[114:115], 0.5, v[70:71] op_sel_hi:[1,0,1] neg_lo:[1,0,0] neg_hi:[1,0,0]
	v_pk_add_f32 v[76:77], v[76:77], v[82:83]
	v_pk_add_f32 v[82:83], v[78:79], v[104:105]
	v_pk_add_f32 v[78:79], v[88:89], v[78:79] neg_lo:[0,1] neg_hi:[0,1]
	v_pk_fma_f32 v[72:73], v[82:83], 0.5, v[72:73] op_sel_hi:[1,0,1] neg_lo:[1,0,0] neg_hi:[1,0,0]
	v_pk_add_f32 v[82:83], v[94:95], v[104:105] neg_lo:[0,1] neg_hi:[0,1]
	v_pk_mul_f32 v[30:31], v[30:31], s[10:11] op_sel_hi:[1,0]
	v_pk_add_f32 v[78:79], v[78:79], v[82:83]
	v_pk_add_f32 v[82:83], v[70:71], v[56:57] op_sel:[0,1] op_sel_hi:[1,0] neg_lo:[0,1] neg_hi:[0,1]
	v_pk_add_f32 v[56:57], v[70:71], v[56:57] op_sel:[0,1] op_sel_hi:[1,0]
	v_pk_mul_f32 v[70:71], v[80:81], s[4:5] op_sel_hi:[1,0]
	v_pk_add_f32 v[56:57], v[56:57], v[30:31] op_sel:[0,1] op_sel_hi:[1,0] neg_lo:[0,1] neg_hi:[0,1]
	v_pk_add_f32 v[80:81], v[72:73], v[70:71] op_sel:[0,1] op_sel_hi:[1,0] neg_lo:[0,1] neg_hi:[0,1]
	v_pk_add_f32 v[70:71], v[72:73], v[70:71] op_sel:[0,1] op_sel_hi:[1,0]
	v_pk_mul_f32 v[72:73], v[74:75], s[10:11] op_sel_hi:[1,0]
	v_pk_add_f32 v[30:31], v[82:83], v[30:31] op_sel:[0,1] op_sel_hi:[1,0]
	v_pk_add_f32 v[70:71], v[70:71], v[72:73] op_sel:[0,1] op_sel_hi:[1,0] neg_lo:[0,1] neg_hi:[0,1]
	v_pk_add_f32 v[72:73], v[80:81], v[72:73] op_sel:[0,1] op_sel_hi:[1,0]
	v_mov_b32_e32 v75, v71
	v_mov_b32_e32 v74, v72
	v_pk_fma_f32 v[74:75], v[78:79], s[12:13], v[74:75] op_sel_hi:[1,0,1]
	v_mov_b32_e32 v71, v73
	v_pk_mul_f32 v[80:81], v[74:75], s[4:5] op_sel_hi:[1,0]
	v_mov_b32_e32 v7, v59
	v_pk_fma_f32 v[82:83], v[74:75], s[12:13], v[80:81] op_sel:[0,0,1] op_sel_hi:[1,0,0]
	v_pk_fma_f32 v[74:75], v[74:75], s[12:13], v[80:81] op_sel:[0,0,1] op_sel_hi:[1,0,0] neg_lo:[0,0,1] neg_hi:[0,0,1]
	v_mov_b32_e32 v69, v91
	v_mov_b32_e32 v83, v75
	;; [unrolled: 1-line block ×4, first 2 shown]
	v_pk_fma_f32 v[70:71], v[78:79], s[12:13], v[70:71] op_sel_hi:[1,0,1]
	v_pk_fma_f32 v[2:3], v[2:3], s[12:13], v[6:7] op_sel_hi:[1,0,1]
	;; [unrolled: 1-line block ×3, first 2 shown]
	v_mov_b32_e32 v57, v31
	v_pk_fma_f32 v[30:31], v[76:77], s[12:13], v[74:75] op_sel_hi:[1,0,1]
	v_pk_mul_f32 v[72:73], v[70:71], s[12:13] op_sel_hi:[1,0]
	v_pk_mul_f32 v[58:59], v[6:7], s[16:17] op_sel_hi:[1,0]
	v_pk_fma_f32 v[56:57], v[76:77], s[12:13], v[56:57] op_sel_hi:[1,0,1]
	v_pk_fma_f32 v[70:71], v[70:71], s[14:15], v[72:73] op_sel:[0,0,1] op_sel_hi:[1,1,0] neg_lo:[0,0,1] neg_hi:[0,0,1]
	v_pk_fma_f32 v[6:7], v[6:7], s[18:19], v[58:59] op_sel:[0,0,1] op_sel_hi:[1,1,0] neg_lo:[0,0,1] neg_hi:[0,0,1]
	v_mov_b32_e32 v9, v11
	v_mov_b32_e32 v107, v29
	v_pk_add_f32 v[10:11], v[112:113], v[110:111] neg_lo:[0,1] neg_hi:[0,1]
	v_pk_add_f32 v[28:29], v[30:31], v[82:83] neg_lo:[0,1] neg_hi:[0,1]
	v_pk_add_f32 v[64:65], v[2:3], v[6:7] op_sel:[0,1] op_sel_hi:[1,0]
	ds_write2_b64 v32, v[10:11], v[28:29] offset0:60 offset1:70
	v_pk_add_f32 v[10:11], v[56:57], v[70:71] op_sel:[0,1] op_sel_hi:[1,0] neg_lo:[0,1] neg_hi:[0,1]
	v_pk_add_f32 v[2:3], v[2:3], v[6:7] op_sel:[0,1] op_sel_hi:[1,0] neg_lo:[0,1] neg_hi:[0,1]
	v_pk_add_f32 v[72:73], v[30:31], v[82:83]
	v_pk_add_f32 v[74:75], v[56:57], v[70:71] op_sel:[0,1] op_sel_hi:[1,0]
	v_pk_add_f32 v[58:59], v[98:99], v[108:109] neg_lo:[0,1] neg_hi:[0,1]
	ds_write2_b64 v32, v[10:11], v[2:3] offset0:80 offset1:90
	v_pk_add_f32 v[2:3], v[84:85], v[52:53]
	v_pk_add_f32 v[6:7], v[8:9], v[106:107] neg_lo:[0,1] neg_hi:[0,1]
	ds_write2_b64 v32, v[72:73], v[74:75] offset0:20 offset1:30
	ds_write2_b64 v32, v[64:65], v[58:59] offset0:40 offset1:50
	v_mov_b32_e32 v67, v33
	v_pk_fma_f32 v[2:3], v[2:3], 0.5, v[4:5] op_sel_hi:[1,0,1] neg_lo:[1,0,0] neg_hi:[1,0,0]
	v_pk_mul_f32 v[10:11], v[6:7], s[4:5] op_sel_hi:[1,0]
	v_pk_add_f32 v[28:29], v[84:85], v[52:53] neg_lo:[0,1] neg_hi:[0,1]
	v_pk_add_f32 v[32:33], v[8:9], v[84:85] neg_lo:[0,1] neg_hi:[0,1]
	;; [unrolled: 1-line block ×3, first 2 shown]
	v_mov_b32_e32 v1, v61
	v_mov_b32_e32 v103, v101
	v_pk_mul_f32 v[30:31], v[28:29], s[10:11] op_sel_hi:[1,0]
	v_pk_add_f32 v[32:33], v[32:33], v[34:35]
	v_pk_add_f32 v[34:35], v[2:3], v[10:11] op_sel:[0,1] op_sel_hi:[1,0]
	v_pk_add_f32 v[2:3], v[2:3], v[10:11] op_sel:[0,1] op_sel_hi:[1,0] neg_lo:[0,1] neg_hi:[0,1]
	v_pk_add_f32 v[10:11], v[34:35], v[30:31] op_sel:[0,1] op_sel_hi:[1,0]
	v_pk_add_f32 v[2:3], v[2:3], v[30:31] op_sel:[0,1] op_sel_hi:[1,0] neg_lo:[0,1] neg_hi:[0,1]
	v_pk_add_f32 v[30:31], v[0:1], v[92:93] neg_lo:[0,1] neg_hi:[0,1]
	v_pk_add_f32 v[34:35], v[66:67], v[102:103] neg_lo:[0,1] neg_hi:[0,1]
	;; [unrolled: 1-line block ×3, first 2 shown]
	v_pk_add_f32 v[30:31], v[30:31], v[34:35]
	v_pk_add_f32 v[34:35], v[92:93], v[102:103]
	v_pk_mul_f32 v[56:57], v[54:55], s[4:5] op_sel_hi:[1,0]
	v_pk_fma_f32 v[34:35], v[34:35], 0.5, v[12:13] op_sel_hi:[1,0,1] neg_lo:[1,0,0] neg_hi:[1,0,0]
	v_pk_add_f32 v[14:15], v[4:5], v[8:9]
	v_pk_add_f32 v[58:59], v[34:35], v[56:57] op_sel:[0,1] op_sel_hi:[1,0]
	v_pk_add_f32 v[34:35], v[34:35], v[56:57] op_sel:[0,1] op_sel_hi:[1,0] neg_lo:[0,1] neg_hi:[0,1]
	v_pk_add_f32 v[56:57], v[92:93], v[102:103] neg_lo:[0,1] neg_hi:[0,1]
	v_pk_add_f32 v[14:15], v[14:15], v[84:85]
	v_pk_mul_f32 v[60:61], v[56:57], s[10:11] op_sel_hi:[1,0]
	v_pk_add_f32 v[14:15], v[14:15], v[52:53]
	v_pk_add_f32 v[34:35], v[34:35], v[60:61] op_sel:[0,1] op_sel_hi:[1,0] neg_lo:[0,1] neg_hi:[0,1]
	v_pk_add_f32 v[58:59], v[58:59], v[60:61] op_sel:[0,1] op_sel_hi:[1,0]
	v_mov_b32_e32 v61, v35
	v_mov_b32_e32 v60, v58
	v_pk_fma_f32 v[60:61], v[30:31], s[12:13], v[60:61] op_sel_hi:[1,0,1]
	v_pk_add_f32 v[14:15], v[14:15], v[106:107]
	v_pk_mul_f32 v[62:63], v[60:61], s[10:11] op_sel_hi:[1,0]
	v_pk_add_f32 v[52:53], v[52:53], v[106:107] neg_lo:[0,1] neg_hi:[0,1]
	v_pk_fma_f32 v[64:65], v[60:61], s[16:17], v[62:63] op_sel:[0,0,1] op_sel_hi:[1,0,0]
	v_pk_fma_f32 v[60:61], v[60:61], s[16:17], v[62:63] op_sel:[0,0,1] op_sel_hi:[1,0,0] neg_lo:[0,0,1] neg_hi:[0,0,1]
	v_mov_b32_e32 v62, v10
	v_mov_b32_e32 v65, v61
	v_pk_add_f32 v[60:61], v[12:13], v[0:1]
	v_mov_b32_e32 v63, v3
	v_pk_add_f32 v[60:61], v[60:61], v[92:93]
	v_pk_fma_f32 v[62:63], v[32:33], s[12:13], v[62:63] op_sel_hi:[1,0,1]
	v_pk_add_f32 v[60:61], v[60:61], v[102:103]
	v_pk_add_f32 v[70:71], v[62:63], v[64:65]
	;; [unrolled: 1-line block ×3, first 2 shown]
	v_pk_mul_f32 v[28:29], v[28:29], s[4:5] op_sel_hi:[1,0]
	v_pk_add_f32 v[68:69], v[14:15], v[60:61]
	ds_write2_b64 v27, v[68:69], v[70:71] offset1:10
	v_pk_add_f32 v[68:69], v[8:9], v[106:107]
	v_pk_add_f32 v[8:9], v[84:85], v[8:9] neg_lo:[0,1] neg_hi:[0,1]
	v_pk_fma_f32 v[4:5], v[68:69], 0.5, v[4:5] op_sel_hi:[1,0,1] neg_lo:[1,0,0] neg_hi:[1,0,0]
	v_pk_add_f32 v[8:9], v[8:9], v[52:53]
	v_pk_add_f32 v[52:53], v[0:1], v[66:67]
	v_pk_add_f32 v[0:1], v[92:93], v[0:1] neg_lo:[0,1] neg_hi:[0,1]
	v_pk_fma_f32 v[12:13], v[52:53], 0.5, v[12:13] op_sel_hi:[1,0,1] neg_lo:[1,0,0] neg_hi:[1,0,0]
	v_pk_add_f32 v[52:53], v[102:103], v[66:67] neg_lo:[0,1] neg_hi:[0,1]
	v_pk_mul_f32 v[6:7], v[6:7], s[10:11] op_sel_hi:[1,0]
	v_pk_add_f32 v[0:1], v[0:1], v[52:53]
	v_pk_add_f32 v[52:53], v[4:5], v[28:29] op_sel:[0,1] op_sel_hi:[1,0] neg_lo:[0,1] neg_hi:[0,1]
	v_pk_add_f32 v[4:5], v[4:5], v[28:29] op_sel:[0,1] op_sel_hi:[1,0]
	v_pk_mul_f32 v[28:29], v[56:57], s[4:5] op_sel_hi:[1,0]
	v_pk_add_f32 v[4:5], v[4:5], v[6:7] op_sel:[0,1] op_sel_hi:[1,0] neg_lo:[0,1] neg_hi:[0,1]
	v_pk_add_f32 v[6:7], v[52:53], v[6:7] op_sel:[0,1] op_sel_hi:[1,0]
	v_pk_mul_f32 v[52:53], v[54:55], s[10:11] op_sel_hi:[1,0]
	v_pk_add_f32 v[54:55], v[12:13], v[28:29] op_sel:[0,1] op_sel_hi:[1,0] neg_lo:[0,1] neg_hi:[0,1]
	v_pk_add_f32 v[12:13], v[12:13], v[28:29] op_sel:[0,1] op_sel_hi:[1,0]
	v_pk_add_f32 v[28:29], v[54:55], v[52:53] op_sel:[0,1] op_sel_hi:[1,0]
	v_pk_add_f32 v[12:13], v[12:13], v[52:53] op_sel:[0,1] op_sel_hi:[1,0] neg_lo:[0,1] neg_hi:[0,1]
	v_mov_b32_e32 v52, v28
	v_mov_b32_e32 v53, v13
	v_pk_fma_f32 v[52:53], v[0:1], s[12:13], v[52:53] op_sel_hi:[1,0,1]
	v_mov_b32_e32 v13, v29
	v_pk_mul_f32 v[54:55], v[52:53], s[4:5] op_sel_hi:[1,0]
	v_pk_fma_f32 v[0:1], v[0:1], s[12:13], v[12:13] op_sel_hi:[1,0,1]
	v_pk_fma_f32 v[56:57], v[52:53], s[12:13], v[54:55] op_sel:[0,0,1] op_sel_hi:[1,0,0]
	v_pk_fma_f32 v[52:53], v[52:53], s[12:13], v[54:55] op_sel:[0,0,1] op_sel_hi:[1,0,0] neg_lo:[0,0,1] neg_hi:[0,0,1]
	v_mov_b32_e32 v35, v59
	v_mov_b32_e32 v57, v53
	;; [unrolled: 1-line block ×5, first 2 shown]
	v_pk_fma_f32 v[52:53], v[8:9], s[12:13], v[52:53] op_sel_hi:[1,0,1]
	v_pk_fma_f32 v[4:5], v[8:9], s[12:13], v[4:5] op_sel_hi:[1,0,1]
	v_pk_mul_f32 v[8:9], v[0:1], s[12:13] op_sel_hi:[1,0]
	v_pk_add_f32 v[6:7], v[52:53], v[56:57]
	v_pk_fma_f32 v[0:1], v[0:1], s[14:15], v[8:9] op_sel:[0,0,1] op_sel_hi:[1,1,0] neg_lo:[0,0,1] neg_hi:[0,0,1]
	v_mov_b32_e32 v3, v11
	v_pk_add_f32 v[8:9], v[4:5], v[0:1] op_sel:[0,1] op_sel_hi:[1,0]
	ds_write2_b64 v27, v[6:7], v[8:9] offset0:20 offset1:30
	v_pk_fma_f32 v[6:7], v[30:31], s[12:13], v[34:35] op_sel_hi:[1,0,1]
	v_pk_fma_f32 v[2:3], v[32:33], s[12:13], v[2:3] op_sel_hi:[1,0,1]
	v_pk_mul_f32 v[8:9], v[6:7], s[16:17] op_sel_hi:[1,0]
	v_pk_add_f32 v[0:1], v[4:5], v[0:1] op_sel:[0,1] op_sel_hi:[1,0] neg_lo:[0,1] neg_hi:[0,1]
	v_pk_fma_f32 v[6:7], v[6:7], s[18:19], v[8:9] op_sel:[0,0,1] op_sel_hi:[1,1,0] neg_lo:[0,0,1] neg_hi:[0,0,1]
	s_movk_i32 s5, 0x64
	v_pk_add_f32 v[8:9], v[2:3], v[6:7] op_sel:[0,1] op_sel_hi:[1,0]
	v_pk_add_f32 v[2:3], v[2:3], v[6:7] op_sel:[0,1] op_sel_hi:[1,0] neg_lo:[0,1] neg_hi:[0,1]
	ds_write2_b64 v27, v[0:1], v[2:3] offset0:80 offset1:90
	v_add_u32_e32 v0, 0xffffff9c, v38
	v_cmp_gt_u32_e32 vcc, s5, v38
	v_pk_add_f32 v[10:11], v[14:15], v[60:61] neg_lo:[0,1] neg_hi:[0,1]
	v_mov_b32_e32 v13, 0
	v_cndmask_b32_e32 v28, v0, v38, vcc
	v_mul_i32_i24_e32 v12, 9, v28
	ds_write2_b64 v27, v[8:9], v[10:11] offset0:40 offset1:50
	v_pk_add_f32 v[8:9], v[62:63], v[64:65] neg_lo:[0,1] neg_hi:[0,1]
	v_pk_add_f32 v[10:11], v[52:53], v[56:57] neg_lo:[0,1] neg_hi:[0,1]
	v_lshl_add_u64 v[14:15], v[12:13], 3, s[8:9]
	ds_write2_b64 v27, v[8:9], v[10:11] offset0:60 offset1:70
	s_waitcnt lgkmcnt(0)
	s_barrier
	global_load_dwordx4 v[0:3], v[14:15], off offset:720
	v_lshrrev_b16_e32 v4, 2, v42
	v_mul_u32_u24_e32 v4, 0x147b, v4
	v_lshrrev_b32_e32 v12, 17, v4
	v_mul_lo_u16_e32 v4, 0x64, v12
	v_sub_u16_e32 v27, v42, v4
	v_mul_u32_u24_e32 v4, 9, v27
	v_lshlrev_b32_e32 v29, 3, v4
	global_load_dwordx4 v[4:7], v29, s[8:9] offset:720
	global_load_dwordx4 v[8:11], v[14:15], off offset:736
	global_load_dwordx4 v[30:33], v29, s[8:9] offset:736
	global_load_dwordx4 v[52:55], v[14:15], off offset:752
	;; [unrolled: 2-line block ×3, first 2 shown]
	ds_read_b64 v[34:35], v18
	ds_read2_b64 v[64:67], v19 offset0:40 offset1:240
	ds_read_b64 v[68:69], v50 offset:4800
	ds_read_b64 v[72:73], v50 offset:30400
	ds_read_b64 v[70:71], v17
	global_load_dwordx2 v[14:15], v[14:15], off offset:784
	ds_read_b64 v[80:81], v50
	v_mul_u32_u24_e32 v12, 0x1f40, v12
	v_lshlrev_b32_e32 v27, 3, v27
	v_add3_u32 v12, 0, v12, v27
	v_add_u32_e32 v27, 0x800, v12
	s_waitcnt vmcnt(7) lgkmcnt(5)
	v_pk_mul_f32 v[74:75], v[0:1], v[34:35] op_sel:[0,1]
	s_nop 0
	v_pk_fma_f32 v[76:77], v[0:1], v[34:35], v[74:75] op_sel:[0,0,1] op_sel_hi:[1,1,0] neg_lo:[0,0,1] neg_hi:[0,0,1]
	v_pk_fma_f32 v[34:35], v[0:1], v[34:35], v[74:75] op_sel:[0,0,1] op_sel_hi:[1,0,0]
	s_waitcnt lgkmcnt(1)
	v_pk_mul_f32 v[74:75], v[2:3], v[70:71] op_sel:[0,1]
	ds_read_b64 v[0:1], v20
	v_pk_fma_f32 v[78:79], v[2:3], v[70:71], v[74:75] op_sel:[0,0,1] op_sel_hi:[1,1,0] neg_lo:[0,0,1] neg_hi:[0,0,1]
	v_pk_fma_f32 v[74:75], v[2:3], v[70:71], v[74:75] op_sel:[0,0,1] op_sel_hi:[1,0,0]
	s_waitcnt vmcnt(6)
	v_pk_mul_f32 v[70:71], v[68:69], v[4:5] op_sel:[0,1]
	v_mov_b32_e32 v79, v75
	v_pk_fma_f32 v[2:3], v[68:69], v[4:5], v[70:71] op_sel:[0,0,1] op_sel_hi:[1,1,0] neg_lo:[0,0,1] neg_hi:[0,0,1]
	v_pk_fma_f32 v[82:83], v[68:69], v[4:5], v[70:71] op_sel:[0,0,1] op_sel_hi:[1,0,0]
	ds_read2_b64 v[68:71], v21 offset0:24 offset1:224
	v_mov_b32_e32 v4, v7
	v_pk_mul_f32 v[84:85], v[64:65], v[4:5] op_sel_hi:[1,0]
	v_mov_b32_e32 v77, v35
	v_pk_fma_f32 v[4:5], v[64:65], v[6:7], v[84:85] op_sel:[0,0,1] op_sel_hi:[1,1,0] neg_lo:[0,0,1] neg_hi:[0,0,1]
	v_pk_fma_f32 v[64:65], v[64:65], v[6:7], v[84:85] op_sel:[0,0,1] op_sel_hi:[1,0,0]
	s_waitcnt vmcnt(5)
	v_pk_mul_f32 v[6:7], v[8:9], v[66:67] op_sel:[0,1]
	s_waitcnt vmcnt(4) lgkmcnt(0)
	v_pk_mul_f32 v[88:89], v[68:69], v[30:31] op_sel:[0,1]
	v_pk_fma_f32 v[84:85], v[8:9], v[66:67], v[6:7] op_sel:[0,0,1] op_sel_hi:[1,1,0] neg_lo:[0,0,1] neg_hi:[0,0,1]
	v_pk_fma_f32 v[66:67], v[8:9], v[66:67], v[6:7] op_sel:[0,0,1] op_sel_hi:[1,0,0]
	v_pk_mul_f32 v[6:7], v[10:11], v[70:71] op_sel:[0,1]
	v_mov_b32_e32 v85, v67
	v_pk_fma_f32 v[86:87], v[10:11], v[70:71], v[6:7] op_sel:[0,0,1] op_sel_hi:[1,1,0] neg_lo:[0,0,1] neg_hi:[0,0,1]
	v_pk_fma_f32 v[70:71], v[10:11], v[70:71], v[6:7] op_sel:[0,0,1] op_sel_hi:[1,0,0]
	ds_read2_b64 v[8:11], v24 offset0:8 offset1:208
	v_pk_fma_f32 v[6:7], v[68:69], v[30:31], v[88:89] op_sel:[0,0,1] op_sel_hi:[1,1,0] neg_lo:[0,0,1] neg_hi:[0,0,1]
	v_pk_fma_f32 v[68:69], v[68:69], v[30:31], v[88:89] op_sel:[0,0,1] op_sel_hi:[1,0,0]
	v_mov_b32_e32 v30, v33
	v_mov_b32_e32 v87, v71
	s_waitcnt lgkmcnt(0)
	v_pk_mul_f32 v[30:31], v[8:9], v[30:31] op_sel_hi:[1,0]
	v_mov_b32_e32 v3, 0x1f40
	v_pk_fma_f32 v[88:89], v[8:9], v[32:33], v[30:31] op_sel:[0,0,1] op_sel_hi:[1,1,0] neg_lo:[0,0,1] neg_hi:[0,0,1]
	v_pk_fma_f32 v[90:91], v[8:9], v[32:33], v[30:31] op_sel:[0,0,1] op_sel_hi:[1,0,0]
	s_waitcnt vmcnt(3)
	v_pk_mul_f32 v[8:9], v[10:11], v[52:53] op_sel:[0,1]
	v_mov_b32_e32 v30, v55
	v_pk_fma_f32 v[92:93], v[10:11], v[52:53], v[8:9] op_sel:[0,0,1] op_sel_hi:[1,1,0] neg_lo:[0,0,1] neg_hi:[0,0,1]
	v_pk_fma_f32 v[52:53], v[10:11], v[52:53], v[8:9] op_sel:[0,0,1] op_sel_hi:[1,0,0]
	ds_read2_b64 v[8:11], v23 offset0:24 offset1:224
	v_mov_b32_e32 v93, v53
	v_lshlrev_b32_e32 v5, 3, v28
	v_mov_b32_e32 v89, v91
	v_mov_b32_e32 v7, v69
	s_waitcnt lgkmcnt(0)
	v_pk_mul_f32 v[30:31], v[10:11], v[30:31] op_sel_hi:[1,0]
	s_nop 0
	v_pk_fma_f32 v[94:95], v[10:11], v[54:55], v[30:31] op_sel:[0,0,1] op_sel_hi:[1,1,0] neg_lo:[0,0,1] neg_hi:[0,0,1]
	v_pk_fma_f32 v[54:55], v[10:11], v[54:55], v[30:31] op_sel:[0,0,1] op_sel_hi:[1,0,0]
	s_waitcnt vmcnt(2)
	v_pk_mul_f32 v[10:11], v[8:9], v[56:57] op_sel:[0,1]
	v_mov_b32_e32 v30, v59
	v_pk_fma_f32 v[96:97], v[8:9], v[56:57], v[10:11] op_sel:[0,0,1] op_sel_hi:[1,1,0] neg_lo:[0,0,1] neg_hi:[0,0,1]
	v_pk_fma_f32 v[56:57], v[8:9], v[56:57], v[10:11] op_sel:[0,0,1] op_sel_hi:[1,0,0]
	ds_read2_b64 v[8:11], v26 offset0:40 offset1:240
	v_mov_b32_e32 v95, v55
	v_pk_add_f32 v[34:35], v[86:87], v[94:95] neg_lo:[0,1] neg_hi:[0,1]
	v_mov_b32_e32 v97, v57
	v_pk_mul_f32 v[52:53], v[34:35], s[4:5] op_sel_hi:[1,0]
	s_waitcnt lgkmcnt(0)
	v_pk_mul_f32 v[30:31], v[8:9], v[30:31] op_sel_hi:[1,0]
	v_pk_mul_f32 v[34:35], v[34:35], s[10:11] op_sel_hi:[1,0]
	v_pk_fma_f32 v[98:99], v[8:9], v[58:59], v[30:31] op_sel:[0,0,1] op_sel_hi:[1,1,0] neg_lo:[0,0,1] neg_hi:[0,0,1]
	v_pk_fma_f32 v[58:59], v[8:9], v[58:59], v[30:31] op_sel:[0,0,1] op_sel_hi:[1,0,0]
	s_waitcnt vmcnt(1)
	v_pk_mul_f32 v[8:9], v[10:11], v[60:61] op_sel:[0,1]
	v_mov_b32_e32 v30, v63
	v_pk_fma_f32 v[100:101], v[10:11], v[60:61], v[8:9] op_sel:[0,0,1] op_sel_hi:[1,1,0] neg_lo:[0,0,1] neg_hi:[0,0,1]
	v_pk_fma_f32 v[60:61], v[10:11], v[60:61], v[8:9] op_sel:[0,0,1] op_sel_hi:[1,0,0]
	ds_read2_b64 v[8:11], v22 offset0:24 offset1:224
	v_mov_b32_e32 v101, v61
	v_mov_b32_e32 v99, v59
	s_waitcnt lgkmcnt(0)
	v_pk_mul_f32 v[30:31], v[10:11], v[30:31] op_sel_hi:[1,0]
	s_nop 0
	v_pk_fma_f32 v[102:103], v[10:11], v[62:63], v[30:31] op_sel:[0,0,1] op_sel_hi:[1,1,0] neg_lo:[0,0,1] neg_hi:[0,0,1]
	v_pk_fma_f32 v[62:63], v[10:11], v[62:63], v[30:31] op_sel:[0,0,1] op_sel_hi:[1,0,0]
	global_load_dwordx2 v[104:105], v29, s[8:9] offset:784
	global_load_dwordx4 v[30:33], v29, s[8:9] offset:768
	v_mov_b32_e32 v103, v63
	v_pk_add_f32 v[62:63], v[92:93], v[100:101] neg_lo:[0,1] neg_hi:[0,1]
	s_waitcnt vmcnt(0)
	v_pk_mul_f32 v[10:11], v[8:9], v[30:31] op_sel:[0,1]
	s_nop 0
	v_pk_fma_f32 v[106:107], v[8:9], v[30:31], v[10:11] op_sel:[0,0,1] op_sel_hi:[1,1,0] neg_lo:[0,0,1] neg_hi:[0,0,1]
	v_pk_fma_f32 v[30:31], v[8:9], v[30:31], v[10:11] op_sel:[0,0,1] op_sel_hi:[1,0,0]
	ds_read2_b64 v[8:11], v25 offset0:8 offset1:208
	v_mov_b32_e32 v30, v33
	v_pk_mul_f32 v[66:67], v[62:63], s[4:5] op_sel_hi:[1,0]
	s_waitcnt lgkmcnt(0)
	s_barrier
	v_pk_mul_f32 v[108:109], v[8:9], v[30:31] op_sel_hi:[1,0]
	s_nop 0
	v_pk_fma_f32 v[110:111], v[8:9], v[32:33], v[108:109] op_sel:[0,0,1] op_sel_hi:[1,1,0] neg_lo:[0,0,1] neg_hi:[0,0,1]
	v_pk_fma_f32 v[8:9], v[8:9], v[32:33], v[108:109] op_sel:[0,0,1] op_sel_hi:[1,0,0]
	v_pk_mul_f32 v[32:33], v[10:11], v[14:15] op_sel:[0,1]
	v_pk_mul_f32 v[62:63], v[62:63], s[10:11] op_sel_hi:[1,0]
	v_pk_fma_f32 v[108:109], v[10:11], v[14:15], v[32:33] op_sel:[0,0,1] op_sel_hi:[1,1,0] neg_lo:[0,0,1] neg_hi:[0,0,1]
	v_pk_fma_f32 v[10:11], v[10:11], v[14:15], v[32:33] op_sel:[0,0,1] op_sel_hi:[1,0,0]
	v_pk_add_f32 v[14:15], v[94:95], v[102:103] neg_lo:[0,1] neg_hi:[0,1]
	v_mov_b32_e32 v109, v11
	v_pk_add_f32 v[10:11], v[86:87], v[78:79] neg_lo:[0,1] neg_hi:[0,1]
	v_pk_add_f32 v[32:33], v[100:101], v[108:109] neg_lo:[0,1] neg_hi:[0,1]
	v_pk_add_f32 v[10:11], v[10:11], v[14:15]
	v_pk_add_f32 v[14:15], v[92:93], v[84:85] neg_lo:[0,1] neg_hi:[0,1]
	v_mov_b32_e32 v107, v31
	v_pk_add_f32 v[14:15], v[14:15], v[32:33]
	v_pk_add_f32 v[32:33], v[78:79], v[102:103]
	v_mov_b32_e32 v111, v9
	v_pk_fma_f32 v[32:33], v[32:33], 0.5, v[80:81] op_sel_hi:[1,0,1] neg_lo:[1,0,0] neg_hi:[1,0,0]
	s_nop 0
	v_pk_add_f32 v[54:55], v[32:33], v[52:53] op_sel:[0,1] op_sel_hi:[1,0] neg_lo:[0,1] neg_hi:[0,1]
	v_pk_add_f32 v[32:33], v[32:33], v[52:53] op_sel:[0,1] op_sel_hi:[1,0]
	v_pk_add_f32 v[52:53], v[78:79], v[102:103] neg_lo:[0,1] neg_hi:[0,1]
	s_nop 0
	v_pk_mul_f32 v[60:61], v[52:53], s[10:11] op_sel_hi:[1,0]
	s_nop 0
	v_pk_add_f32 v[32:33], v[32:33], v[60:61] op_sel:[0,1] op_sel_hi:[1,0] neg_lo:[0,1] neg_hi:[0,1]
	v_pk_add_f32 v[54:55], v[54:55], v[60:61] op_sel:[0,1] op_sel_hi:[1,0]
	v_pk_add_f32 v[60:61], v[84:85], v[108:109]
	s_nop 0
	v_pk_fma_f32 v[60:61], v[60:61], 0.5, v[76:77] op_sel_hi:[1,0,1] neg_lo:[1,0,0] neg_hi:[1,0,0]
	s_nop 0
	v_pk_add_f32 v[70:71], v[60:61], v[66:67] op_sel:[0,1] op_sel_hi:[1,0] neg_lo:[0,1] neg_hi:[0,1]
	v_pk_add_f32 v[60:61], v[60:61], v[66:67] op_sel:[0,1] op_sel_hi:[1,0]
	v_pk_add_f32 v[66:67], v[84:85], v[108:109] neg_lo:[0,1] neg_hi:[0,1]
	s_nop 0
	v_pk_mul_f32 v[74:75], v[66:67], s[10:11] op_sel_hi:[1,0]
	s_nop 0
	v_pk_add_f32 v[60:61], v[60:61], v[74:75] op_sel:[0,1] op_sel_hi:[1,0] neg_lo:[0,1] neg_hi:[0,1]
	v_pk_add_f32 v[70:71], v[70:71], v[74:75] op_sel:[0,1] op_sel_hi:[1,0]
	v_mov_b32_e32 v75, v61
	v_mov_b32_e32 v74, v70
	v_pk_fma_f32 v[74:75], v[14:15], s[12:13], v[74:75] op_sel_hi:[1,0,1]
	v_mov_b32_e32 v61, v71
	v_pk_mul_f32 v[112:113], v[74:75], s[4:5] op_sel_hi:[1,0]
	s_movk_i32 s5, 0x63
	v_pk_fma_f32 v[114:115], v[74:75], s[12:13], v[112:113] op_sel:[0,0,1] op_sel_hi:[1,0,0]
	v_pk_fma_f32 v[74:75], v[74:75], s[12:13], v[112:113] op_sel:[0,0,1] op_sel_hi:[1,0,0] neg_lo:[0,0,1] neg_hi:[0,0,1]
	v_pk_fma_f32 v[14:15], v[14:15], s[12:13], v[60:61] op_sel_hi:[1,0,1]
	v_mov_b32_e32 v115, v75
	v_mov_b32_e32 v74, v54
	v_mov_b32_e32 v75, v33
	v_mov_b32_e32 v33, v55
	v_cmp_lt_u32_e32 vcc, s5, v38
	v_pk_fma_f32 v[54:55], v[10:11], s[12:13], v[74:75] op_sel_hi:[1,0,1]
	v_pk_fma_f32 v[10:11], v[10:11], s[12:13], v[32:33] op_sel_hi:[1,0,1]
	v_pk_mul_f32 v[32:33], v[14:15], s[12:13] op_sel_hi:[1,0]
	v_cndmask_b32_e32 v3, 0, v3, vcc
	v_pk_fma_f32 v[14:15], v[14:15], s[14:15], v[32:33] op_sel:[0,0,1] op_sel_hi:[1,1,0] neg_lo:[0,0,1] neg_hi:[0,0,1]
	v_add3_u32 v43, 0, v3, v5
	v_add_u32_e32 v3, 0x400, v43
	v_pk_add_f32 v[28:29], v[54:55], v[114:115]
	v_pk_add_f32 v[32:33], v[10:11], v[14:15] op_sel:[0,1] op_sel_hi:[1,0]
	ds_write2_b64 v3, v[28:29], v[32:33] offset0:72 offset1:172
	v_pk_add_f32 v[28:29], v[86:87], v[94:95]
	v_pk_add_f32 v[60:61], v[78:79], v[86:87] neg_lo:[0,1] neg_hi:[0,1]
	v_pk_fma_f32 v[28:29], v[28:29], 0.5, v[80:81] op_sel_hi:[1,0,1] neg_lo:[1,0,0] neg_hi:[1,0,0]
	v_pk_add_f32 v[70:71], v[102:103], v[94:95] neg_lo:[0,1] neg_hi:[0,1]
	v_pk_mul_f32 v[52:53], v[52:53], s[4:5] op_sel_hi:[1,0]
	v_pk_add_f32 v[60:61], v[60:61], v[70:71]
	v_pk_add_f32 v[70:71], v[28:29], v[52:53] op_sel:[0,1] op_sel_hi:[1,0]
	v_pk_add_f32 v[28:29], v[28:29], v[52:53] op_sel:[0,1] op_sel_hi:[1,0] neg_lo:[0,1] neg_hi:[0,1]
	v_pk_add_f32 v[52:53], v[92:93], v[100:101]
	v_pk_add_f32 v[28:29], v[28:29], v[34:35] op_sel:[0,1] op_sel_hi:[1,0] neg_lo:[0,1] neg_hi:[0,1]
	v_pk_add_f32 v[34:35], v[70:71], v[34:35] op_sel:[0,1] op_sel_hi:[1,0]
	v_pk_fma_f32 v[52:53], v[52:53], 0.5, v[76:77] op_sel_hi:[1,0,1] neg_lo:[1,0,0] neg_hi:[1,0,0]
	v_pk_add_f32 v[70:71], v[76:77], v[84:85]
	v_pk_add_f32 v[74:75], v[84:85], v[92:93] neg_lo:[0,1] neg_hi:[0,1]
	v_pk_add_f32 v[76:77], v[108:109], v[100:101] neg_lo:[0,1] neg_hi:[0,1]
	v_pk_mul_f32 v[66:67], v[66:67], s[4:5] op_sel_hi:[1,0]
	v_pk_add_f32 v[74:75], v[74:75], v[76:77]
	v_pk_add_f32 v[76:77], v[52:53], v[66:67] op_sel:[0,1] op_sel_hi:[1,0]
	v_pk_add_f32 v[52:53], v[52:53], v[66:67] op_sel:[0,1] op_sel_hi:[1,0] neg_lo:[0,1] neg_hi:[0,1]
	v_pk_add_f32 v[32:33], v[80:81], v[78:79]
	v_pk_add_f32 v[52:53], v[52:53], v[62:63] op_sel:[0,1] op_sel_hi:[1,0] neg_lo:[0,1] neg_hi:[0,1]
	v_pk_add_f32 v[62:63], v[76:77], v[62:63] op_sel:[0,1] op_sel_hi:[1,0]
	v_mov_b32_e32 v67, v53
	v_mov_b32_e32 v53, v63
	v_pk_fma_f32 v[52:53], v[74:75], s[12:13], v[52:53] op_sel_hi:[1,0,1]
	v_mov_b32_e32 v66, v62
	v_pk_mul_f32 v[76:77], v[52:53], s[16:17] op_sel_hi:[1,0]
	v_pk_add_f32 v[32:33], v[32:33], v[86:87]
	v_pk_fma_f32 v[52:53], v[52:53], s[18:19], v[76:77] op_sel:[0,0,1] op_sel_hi:[1,1,0] neg_lo:[0,0,1] neg_hi:[0,0,1]
	v_mov_b32_e32 v77, v29
	v_mov_b32_e32 v29, v35
	;; [unrolled: 1-line block ×3, first 2 shown]
	v_pk_fma_f32 v[28:29], v[60:61], s[12:13], v[28:29] op_sel_hi:[1,0,1]
	v_pk_fma_f32 v[34:35], v[60:61], s[12:13], v[76:77] op_sel_hi:[1,0,1]
	v_pk_fma_f32 v[60:61], v[74:75], s[12:13], v[66:67] op_sel_hi:[1,0,1]
	v_pk_add_f32 v[70:71], v[70:71], v[92:93]
	v_pk_mul_f32 v[62:63], v[60:61], s[10:11] op_sel_hi:[1,0]
	v_pk_add_f32 v[32:33], v[32:33], v[94:95]
	v_pk_add_f32 v[70:71], v[70:71], v[100:101]
	v_pk_fma_f32 v[66:67], v[60:61], s[16:17], v[62:63] op_sel:[0,0,1] op_sel_hi:[1,0,0]
	v_pk_fma_f32 v[60:61], v[60:61], s[16:17], v[62:63] op_sel:[0,0,1] op_sel_hi:[1,0,0] neg_lo:[0,0,1] neg_hi:[0,0,1]
	v_pk_add_f32 v[32:33], v[32:33], v[102:103]
	v_pk_add_f32 v[70:71], v[70:71], v[108:109]
	v_mov_b32_e32 v67, v61
	v_add_u32_e32 v3, 0x800, v43
	v_pk_add_f32 v[78:79], v[28:29], v[52:53] op_sel:[0,1] op_sel_hi:[1,0]
	v_pk_add_f32 v[80:81], v[32:33], v[70:71] neg_lo:[0,1] neg_hi:[0,1]
	v_pk_add_f32 v[8:9], v[32:33], v[70:71]
	v_pk_add_f32 v[30:31], v[34:35], v[66:67]
	ds_write2_b64 v3, v[78:79], v[80:81] offset0:144 offset1:244
	v_pk_add_f32 v[54:55], v[54:55], v[114:115] neg_lo:[0,1] neg_hi:[0,1]
	v_add_u32_e32 v3, 0x1000, v43
	v_pk_add_f32 v[60:61], v[34:35], v[66:67] neg_lo:[0,1] neg_hi:[0,1]
	v_mov_b32_e32 v5, v65
	ds_write2_b64 v43, v[8:9], v[30:31] offset1:100
	v_pk_add_f32 v[8:9], v[10:11], v[14:15] op_sel:[0,1] op_sel_hi:[1,0] neg_lo:[0,1] neg_hi:[0,1]
	v_pk_add_f32 v[10:11], v[28:29], v[52:53] op_sel:[0,1] op_sel_hi:[1,0] neg_lo:[0,1] neg_hi:[0,1]
	v_add_u32_e32 v14, 0x1800, v43
	ds_write2_b64 v3, v[60:61], v[54:55] offset0:88 offset1:188
	v_pk_mul_f32 v[54:55], v[72:73], v[104:105] op_sel:[0,1]
	ds_write2_b64 v14, v[8:9], v[10:11] offset0:32 offset1:132
	v_pk_add_f32 v[8:9], v[88:89], v[98:99]
	v_pk_add_f32 v[10:11], v[4:5], v[110:111] neg_lo:[0,1] neg_hi:[0,1]
	v_pk_fma_f32 v[60:61], v[72:73], v[104:105], v[54:55] op_sel:[0,0,1] op_sel_hi:[1,1,0] neg_lo:[0,0,1] neg_hi:[0,0,1]
	v_pk_fma_f32 v[54:55], v[72:73], v[104:105], v[54:55] op_sel:[0,0,1] op_sel_hi:[1,0,0]
	v_pk_fma_f32 v[8:9], v[8:9], 0.5, v[0:1] op_sel_hi:[1,0,1] neg_lo:[1,0,0] neg_hi:[1,0,0]
	v_pk_mul_f32 v[14:15], v[10:11], s[4:5] op_sel_hi:[1,0]
	v_pk_add_f32 v[28:29], v[88:89], v[98:99] neg_lo:[0,1] neg_hi:[0,1]
	v_pk_add_f32 v[30:31], v[4:5], v[88:89] neg_lo:[0,1] neg_hi:[0,1]
	;; [unrolled: 1-line block ×3, first 2 shown]
	v_mov_b32_e32 v61, v55
	v_pk_add_f32 v[30:31], v[30:31], v[32:33]
	v_pk_add_f32 v[32:33], v[8:9], v[14:15] op_sel:[0,1] op_sel_hi:[1,0]
	v_pk_add_f32 v[8:9], v[8:9], v[14:15] op_sel:[0,1] op_sel_hi:[1,0] neg_lo:[0,1] neg_hi:[0,1]
	v_pk_mul_f32 v[14:15], v[28:29], s[10:11] op_sel_hi:[1,0]
	v_pk_add_f32 v[34:35], v[60:61], v[106:107] neg_lo:[0,1] neg_hi:[0,1]
	v_pk_add_f32 v[8:9], v[8:9], v[14:15] op_sel:[0,1] op_sel_hi:[1,0] neg_lo:[0,1] neg_hi:[0,1]
	v_pk_add_f32 v[14:15], v[32:33], v[14:15] op_sel:[0,1] op_sel_hi:[1,0]
	v_pk_add_f32 v[32:33], v[6:7], v[96:97] neg_lo:[0,1] neg_hi:[0,1]
	v_mov_b32_e32 v3, v83
	v_pk_add_f32 v[32:33], v[32:33], v[34:35]
	v_pk_add_f32 v[34:35], v[96:97], v[106:107]
	v_pk_add_f32 v[52:53], v[6:7], v[60:61] neg_lo:[0,1] neg_hi:[0,1]
	v_pk_fma_f32 v[34:35], v[34:35], 0.5, v[2:3] op_sel_hi:[1,0,1] neg_lo:[1,0,0] neg_hi:[1,0,0]
	v_pk_mul_f32 v[54:55], v[52:53], s[4:5] op_sel_hi:[1,0]
	v_mov_b32_e32 v66, v14
	v_pk_add_f32 v[56:57], v[34:35], v[54:55] op_sel:[0,1] op_sel_hi:[1,0]
	v_pk_add_f32 v[34:35], v[34:35], v[54:55] op_sel:[0,1] op_sel_hi:[1,0] neg_lo:[0,1] neg_hi:[0,1]
	v_pk_add_f32 v[54:55], v[96:97], v[106:107] neg_lo:[0,1] neg_hi:[0,1]
	v_mov_b32_e32 v67, v9
	v_pk_mul_f32 v[58:59], v[54:55], s[10:11] op_sel_hi:[1,0]
	v_pk_fma_f32 v[66:67], v[30:31], s[12:13], v[66:67] op_sel_hi:[1,0,1]
	v_pk_add_f32 v[34:35], v[34:35], v[58:59] op_sel:[0,1] op_sel_hi:[1,0] neg_lo:[0,1] neg_hi:[0,1]
	v_pk_add_f32 v[56:57], v[56:57], v[58:59] op_sel:[0,1] op_sel_hi:[1,0]
	v_mov_b32_e32 v59, v35
	v_mov_b32_e32 v58, v56
	v_pk_fma_f32 v[58:59], v[32:33], s[12:13], v[58:59] op_sel_hi:[1,0,1]
	v_pk_mul_f32 v[28:29], v[28:29], s[4:5] op_sel_hi:[1,0]
	v_pk_mul_f32 v[62:63], v[58:59], s[10:11] op_sel_hi:[1,0]
	;; [unrolled: 1-line block ×3, first 2 shown]
	v_pk_fma_f32 v[64:65], v[58:59], s[16:17], v[62:63] op_sel:[0,0,1] op_sel_hi:[1,0,0]
	v_pk_fma_f32 v[58:59], v[58:59], s[16:17], v[62:63] op_sel:[0,0,1] op_sel_hi:[1,0,0] neg_lo:[0,0,1] neg_hi:[0,0,1]
	v_pk_add_f32 v[62:63], v[2:3], v[6:7]
	v_mov_b32_e32 v65, v59
	v_pk_add_f32 v[58:59], v[0:1], v[4:5]
	v_pk_add_f32 v[62:63], v[62:63], v[96:97]
	;; [unrolled: 1-line block ×9, first 2 shown]
	ds_write2_b64 v12, v[68:69], v[70:71] offset1:100
	v_pk_add_f32 v[68:69], v[4:5], v[110:111]
	v_pk_add_f32 v[4:5], v[88:89], v[4:5] neg_lo:[0,1] neg_hi:[0,1]
	v_pk_fma_f32 v[0:1], v[68:69], 0.5, v[0:1] op_sel_hi:[1,0,1] neg_lo:[1,0,0] neg_hi:[1,0,0]
	v_pk_add_f32 v[68:69], v[98:99], v[110:111] neg_lo:[0,1] neg_hi:[0,1]
	v_add_u32_e32 v9, 0x400, v12
	v_pk_add_f32 v[4:5], v[4:5], v[68:69]
	v_pk_add_f32 v[68:69], v[6:7], v[60:61]
	v_pk_add_f32 v[6:7], v[96:97], v[6:7] neg_lo:[0,1] neg_hi:[0,1]
	v_pk_add_f32 v[60:61], v[106:107], v[60:61] neg_lo:[0,1] neg_hi:[0,1]
	v_pk_fma_f32 v[2:3], v[68:69], 0.5, v[2:3] op_sel_hi:[1,0,1] neg_lo:[1,0,0] neg_hi:[1,0,0]
	v_pk_add_f32 v[6:7], v[6:7], v[60:61]
	v_pk_add_f32 v[60:61], v[0:1], v[28:29] op_sel:[0,1] op_sel_hi:[1,0] neg_lo:[0,1] neg_hi:[0,1]
	v_pk_add_f32 v[0:1], v[0:1], v[28:29] op_sel:[0,1] op_sel_hi:[1,0]
	v_pk_mul_f32 v[28:29], v[54:55], s[4:5] op_sel_hi:[1,0]
	v_pk_add_f32 v[0:1], v[0:1], v[10:11] op_sel:[0,1] op_sel_hi:[1,0] neg_lo:[0,1] neg_hi:[0,1]
	v_pk_add_f32 v[54:55], v[2:3], v[28:29] op_sel:[0,1] op_sel_hi:[1,0] neg_lo:[0,1] neg_hi:[0,1]
	v_pk_add_f32 v[2:3], v[2:3], v[28:29] op_sel:[0,1] op_sel_hi:[1,0]
	v_pk_mul_f32 v[28:29], v[52:53], s[10:11] op_sel_hi:[1,0]
	v_pk_add_f32 v[10:11], v[60:61], v[10:11] op_sel:[0,1] op_sel_hi:[1,0]
	v_pk_add_f32 v[2:3], v[2:3], v[28:29] op_sel:[0,1] op_sel_hi:[1,0] neg_lo:[0,1] neg_hi:[0,1]
	v_pk_add_f32 v[28:29], v[54:55], v[28:29] op_sel:[0,1] op_sel_hi:[1,0]
	v_mov_b32_e32 v53, v3
	v_mov_b32_e32 v52, v28
	v_pk_fma_f32 v[52:53], v[6:7], s[12:13], v[52:53] op_sel_hi:[1,0,1]
	v_mov_b32_e32 v3, v29
	v_pk_mul_f32 v[54:55], v[52:53], s[4:5] op_sel_hi:[1,0]
	v_pk_fma_f32 v[2:3], v[6:7], s[12:13], v[2:3] op_sel_hi:[1,0,1]
	v_pk_fma_f32 v[60:61], v[52:53], s[12:13], v[54:55] op_sel:[0,0,1] op_sel_hi:[1,0,0]
	v_pk_fma_f32 v[52:53], v[52:53], s[12:13], v[54:55] op_sel:[0,0,1] op_sel_hi:[1,0,0] neg_lo:[0,0,1] neg_hi:[0,0,1]
	v_pk_mul_f32 v[6:7], v[2:3], s[12:13] op_sel_hi:[1,0]
	v_mov_b32_e32 v61, v53
	v_mov_b32_e32 v52, v10
	;; [unrolled: 1-line block ×4, first 2 shown]
	v_pk_fma_f32 v[10:11], v[4:5], s[12:13], v[52:53] op_sel_hi:[1,0,1]
	v_pk_fma_f32 v[0:1], v[4:5], s[12:13], v[0:1] op_sel_hi:[1,0,1]
	v_pk_fma_f32 v[2:3], v[2:3], s[14:15], v[6:7] op_sel:[0,0,1] op_sel_hi:[1,1,0] neg_lo:[0,0,1] neg_hi:[0,0,1]
	v_pk_add_f32 v[4:5], v[10:11], v[60:61]
	v_pk_add_f32 v[6:7], v[0:1], v[2:3] op_sel:[0,1] op_sel_hi:[1,0]
	v_mov_b32_e32 v35, v57
	ds_write2_b64 v9, v[4:5], v[6:7] offset0:72 offset1:172
	v_mov_b32_e32 v9, v15
	v_pk_fma_f32 v[6:7], v[32:33], s[12:13], v[34:35] op_sel_hi:[1,0,1]
	v_pk_fma_f32 v[4:5], v[30:31], s[12:13], v[8:9] op_sel_hi:[1,0,1]
	v_pk_mul_f32 v[8:9], v[6:7], s[16:17] op_sel_hi:[1,0]
	v_pk_add_f32 v[0:1], v[0:1], v[2:3] op_sel:[0,1] op_sel_hi:[1,0] neg_lo:[0,1] neg_hi:[0,1]
	v_pk_fma_f32 v[6:7], v[6:7], s[18:19], v[8:9] op_sel:[0,0,1] op_sel_hi:[1,1,0] neg_lo:[0,0,1] neg_hi:[0,0,1]
	v_pk_add_f32 v[14:15], v[58:59], v[62:63] neg_lo:[0,1] neg_hi:[0,1]
	v_pk_add_f32 v[8:9], v[4:5], v[6:7] op_sel:[0,1] op_sel_hi:[1,0]
	v_pk_add_f32 v[2:3], v[4:5], v[6:7] op_sel:[0,1] op_sel_hi:[1,0] neg_lo:[0,1] neg_hi:[0,1]
	v_add_u32_e32 v4, 0x1800, v12
	ds_write2_b64 v4, v[0:1], v[2:3] offset0:32 offset1:132
	v_mul_u32_u24_e32 v0, 3, v38
	ds_write2_b64 v27, v[8:9], v[14:15] offset0:144 offset1:244
	v_add_u32_e32 v14, 0x1000, v12
	v_lshlrev_b32_e32 v12, 3, v0
	v_lshl_add_u64 v[0:1], s[8:9], 0, v[12:13]
	v_mul_i32_i24_e32 v12, 3, v42
	v_pk_add_f32 v[8:9], v[66:67], v[64:65] neg_lo:[0,1] neg_hi:[0,1]
	v_pk_add_f32 v[10:11], v[10:11], v[60:61] neg_lo:[0,1] neg_hi:[0,1]
	v_lshl_add_u64 v[2:3], v[12:13], 3, s[8:9]
	v_mul_i32_i24_e32 v12, 3, v48
	ds_write2_b64 v14, v[8:9], v[10:11] offset0:88 offset1:188
	v_lshl_add_u64 v[14:15], v[12:13], 3, s[8:9]
	v_mul_i32_i24_e32 v12, 3, v46
	v_lshl_add_u64 v[56:57], v[12:13], 3, s[8:9]
	v_mul_i32_i24_e32 v12, 3, v44
	s_movk_i32 s4, 0x1000
	v_lshl_add_u64 v[58:59], v[12:13], 3, s[8:9]
	v_add_co_u32_e32 v4, vcc, s4, v58
	s_waitcnt lgkmcnt(0)
	s_nop 0
	v_addc_co_u32_e32 v5, vcc, 0, v59, vcc
	s_barrier
	global_load_dwordx4 v[4:7], v[4:5], off offset:3824
	v_add_co_u32_e32 v8, vcc, s4, v56
	s_nop 1
	v_addc_co_u32_e32 v9, vcc, 0, v57, vcc
	global_load_dwordx4 v[8:11], v[8:9], off offset:3824
	v_add_co_u32_e32 v28, vcc, s4, v14
	s_nop 1
	v_addc_co_u32_e32 v29, vcc, 0, v15, vcc
	;; [unrolled: 4-line block ×3, first 2 shown]
	global_load_dwordx4 v[32:35], v[32:33], off offset:3824
	v_add_co_u32_e32 v52, vcc, s4, v0
	s_mov_b64 s[4:5], 0x1ef0
	s_nop 0
	v_addc_co_u32_e32 v53, vcc, 0, v1, vcc
	global_load_dwordx4 v[52:55], v[52:53], off offset:3824
	v_lshl_add_u64 v[56:57], v[56:57], 0, s[4:5]
	global_load_dwordx2 v[60:61], v[56:57], off offset:16
	v_lshl_add_u64 v[14:15], v[14:15], 0, s[4:5]
	global_load_dwordx2 v[14:15], v[14:15], off offset:16
	;; [unrolled: 2-line block ×5, first 2 shown]
	ds_read2_b64 v[0:3], v24 offset0:8 offset1:208
	ds_read2_b64 v[56:59], v26 offset0:40 offset1:240
	s_add_u32 s4, s8, 0x7cb0
	s_addc_u32 s5, s9, 0
	v_cmp_ne_u32_e32 vcc, 0, v38
	s_waitcnt vmcnt(9) lgkmcnt(1)
	v_pk_mul_f32 v[26:27], v[0:1], v[4:5] op_sel:[0,1]
	s_nop 0
	v_pk_fma_f32 v[68:69], v[0:1], v[4:5], v[26:27] op_sel:[0,0,1] op_sel_hi:[1,1,0] neg_lo:[0,0,1] neg_hi:[0,0,1]
	v_pk_fma_f32 v[26:27], v[0:1], v[4:5], v[26:27] op_sel:[0,0,1] op_sel_hi:[1,0,0]
	v_mov_b32_e32 v0, v7
	s_waitcnt lgkmcnt(0)
	v_pk_mul_f32 v[0:1], v[58:59], v[0:1] op_sel_hi:[1,0]
	v_mov_b32_e32 v69, v27
	v_pk_fma_f32 v[70:71], v[58:59], v[6:7], v[0:1] op_sel:[0,0,1] op_sel_hi:[1,1,0] neg_lo:[0,0,1] neg_hi:[0,0,1]
	v_pk_fma_f32 v[58:59], v[58:59], v[6:7], v[0:1] op_sel:[0,0,1] op_sel_hi:[1,0,0]
	ds_read2_b64 v[4:7], v21 offset0:24 offset1:224
	s_waitcnt vmcnt(8)
	v_mov_b32_e32 v0, v11
	v_pk_mul_f32 v[0:1], v[56:57], v[0:1] op_sel_hi:[1,0]
	v_mov_b32_e32 v71, v59
	v_pk_fma_f32 v[72:73], v[56:57], v[10:11], v[0:1] op_sel:[0,0,1] op_sel_hi:[1,1,0] neg_lo:[0,0,1] neg_hi:[0,0,1]
	v_pk_fma_f32 v[56:57], v[56:57], v[10:11], v[0:1] op_sel:[0,0,1] op_sel_hi:[1,0,0]
	s_waitcnt lgkmcnt(0)
	v_pk_mul_f32 v[0:1], v[6:7], v[8:9] op_sel:[0,1]
	v_mov_b32_e32 v73, v57
	v_pk_fma_f32 v[74:75], v[6:7], v[8:9], v[0:1] op_sel:[0,0,1] op_sel_hi:[1,1,0] neg_lo:[0,0,1] neg_hi:[0,0,1]
	v_pk_fma_f32 v[76:77], v[6:7], v[8:9], v[0:1] op_sel:[0,0,1] op_sel_hi:[1,0,0]
	ds_read2_b64 v[6:9], v23 offset0:24 offset1:224
	s_waitcnt vmcnt(7)
	v_pk_mul_f32 v[0:1], v[4:5], v[28:29] op_sel:[0,1]
	v_mov_b32_e32 v75, v77
	v_pk_fma_f32 v[78:79], v[4:5], v[28:29], v[0:1] op_sel:[0,0,1] op_sel_hi:[1,1,0] neg_lo:[0,0,1] neg_hi:[0,0,1]
	v_pk_fma_f32 v[28:29], v[4:5], v[28:29], v[0:1] op_sel:[0,0,1] op_sel_hi:[1,0,0]
	v_mov_b32_e32 v0, v31
	s_waitcnt lgkmcnt(0)
	v_pk_mul_f32 v[0:1], v[8:9], v[0:1] op_sel_hi:[1,0]
	v_mov_b32_e32 v79, v29
	v_pk_fma_f32 v[80:81], v[8:9], v[30:31], v[0:1] op_sel:[0,0,1] op_sel_hi:[1,1,0] neg_lo:[0,0,1] neg_hi:[0,0,1]
	v_pk_fma_f32 v[30:31], v[8:9], v[30:31], v[0:1] op_sel:[0,0,1] op_sel_hi:[1,0,0]
	ds_read2_b64 v[8:11], v19 offset0:40 offset1:240
	s_waitcnt vmcnt(6)
	v_mov_b32_e32 v0, v35
	v_pk_mul_f32 v[0:1], v[6:7], v[0:1] op_sel_hi:[1,0]
	v_mov_b32_e32 v81, v31
	v_pk_fma_f32 v[82:83], v[6:7], v[34:35], v[0:1] op_sel:[0,0,1] op_sel_hi:[1,1,0] neg_lo:[0,0,1] neg_hi:[0,0,1]
	v_pk_fma_f32 v[34:35], v[6:7], v[34:35], v[0:1] op_sel:[0,0,1] op_sel_hi:[1,0,0]
	s_waitcnt lgkmcnt(0)
	v_pk_mul_f32 v[0:1], v[32:33], v[10:11] op_sel:[0,1]
	ds_read2_b64 v[4:7], v25 offset0:8 offset1:208
	v_pk_fma_f32 v[84:85], v[32:33], v[10:11], v[0:1] op_sel:[0,0,1] op_sel_hi:[1,1,0] neg_lo:[0,0,1] neg_hi:[0,0,1]
	v_pk_fma_f32 v[10:11], v[32:33], v[10:11], v[0:1] op_sel:[0,0,1] op_sel_hi:[1,0,0]
	s_waitcnt vmcnt(5)
	v_pk_mul_f32 v[0:1], v[52:53], v[8:9] op_sel:[0,1]
	v_mov_b32_e32 v85, v11
	v_pk_fma_f32 v[32:33], v[52:53], v[8:9], v[0:1] op_sel:[0,0,1] op_sel_hi:[1,1,0] neg_lo:[0,0,1] neg_hi:[0,0,1]
	v_pk_fma_f32 v[8:9], v[52:53], v[8:9], v[0:1] op_sel:[0,0,1] op_sel_hi:[1,0,0]
	v_pk_mul_f32 v[0:1], v[54:55], v[2:3] op_sel:[0,1]
	v_mov_b32_e32 v33, v9
	v_pk_fma_f32 v[24:25], v[54:55], v[2:3], v[0:1] op_sel:[0,0,1] op_sel_hi:[1,1,0] neg_lo:[0,0,1] neg_hi:[0,0,1]
	v_pk_fma_f32 v[52:53], v[54:55], v[2:3], v[0:1] op_sel:[0,0,1] op_sel_hi:[1,0,0]
	ds_read2_b64 v[0:3], v22 offset0:24 offset1:224
	s_waitcnt vmcnt(4) lgkmcnt(1)
	v_pk_mul_f32 v[54:55], v[6:7], v[60:61] op_sel:[0,1]
	s_waitcnt vmcnt(3)
	v_pk_mul_f32 v[22:23], v[4:5], v[14:15] op_sel:[0,1]
	v_pk_fma_f32 v[86:87], v[6:7], v[60:61], v[54:55] op_sel:[0,0,1] op_sel_hi:[1,1,0] neg_lo:[0,0,1] neg_hi:[0,0,1]
	v_pk_fma_f32 v[6:7], v[6:7], v[60:61], v[54:55] op_sel:[0,0,1] op_sel_hi:[1,0,0]
	v_pk_fma_f32 v[54:55], v[4:5], v[14:15], v[22:23] op_sel:[0,0,1] op_sel_hi:[1,1,0] neg_lo:[0,0,1] neg_hi:[0,0,1]
	v_pk_fma_f32 v[4:5], v[4:5], v[14:15], v[22:23] op_sel:[0,0,1] op_sel_hi:[1,0,0]
	s_waitcnt vmcnt(2) lgkmcnt(0)
	v_pk_mul_f32 v[14:15], v[2:3], v[62:63] op_sel:[0,1]
	v_mov_b32_e32 v87, v7
	v_pk_fma_f32 v[22:23], v[2:3], v[62:63], v[14:15] op_sel:[0,0,1] op_sel_hi:[1,1,0] neg_lo:[0,0,1] neg_hi:[0,0,1]
	v_pk_fma_f32 v[2:3], v[2:3], v[62:63], v[14:15] op_sel:[0,0,1] op_sel_hi:[1,0,0]
	s_waitcnt vmcnt(1)
	v_pk_mul_f32 v[14:15], v[64:65], v[0:1] op_sel:[0,1]
	ds_read_b64 v[62:63], v50 offset:30400
	v_pk_fma_f32 v[60:61], v[64:65], v[0:1], v[14:15] op_sel:[0,0,1] op_sel_hi:[1,1,0] neg_lo:[0,0,1] neg_hi:[0,0,1]
	v_pk_fma_f32 v[0:1], v[64:65], v[0:1], v[14:15] op_sel:[0,0,1] op_sel_hi:[1,0,0]
	ds_read_b64 v[14:15], v18
	ds_read_b64 v[64:65], v17
	;; [unrolled: 1-line block ×3, first 2 shown]
	v_lshl_add_u32 v7, v46, 3, 0
	ds_read_b64 v[26:27], v7
	v_mov_b32_e32 v61, v1
	ds_read_b64 v[0:1], v20
	v_mov_b32_e32 v25, v53
	v_mov_b32_e32 v23, v3
	s_waitcnt lgkmcnt(3)
	v_pk_add_f32 v[2:3], v[64:65], v[70:71] neg_lo:[0,1] neg_hi:[0,1]
	s_waitcnt lgkmcnt(2)
	v_pk_add_f32 v[24:25], v[88:89], v[24:25] neg_lo:[0,1] neg_hi:[0,1]
	v_pk_add_f32 v[60:61], v[32:33], v[60:61] neg_lo:[0,1] neg_hi:[0,1]
	v_mov_b32_e32 v55, v5
	v_pk_fma_f32 v[4:5], v[64:65], 2.0, v[2:3] op_sel_hi:[1,0,1] neg_lo:[0,0,1] neg_hi:[0,0,1]
	v_pk_fma_f32 v[64:65], v[88:89], 2.0, v[24:25] op_sel_hi:[1,0,1] neg_lo:[0,0,1] neg_hi:[0,0,1]
	;; [unrolled: 1-line block ×3, first 2 shown]
	s_waitcnt vmcnt(0)
	v_pk_mul_f32 v[90:91], v[62:63], v[66:67] op_sel:[0,1]
	v_mov_b32_e32 v83, v35
	v_pk_add_f32 v[32:33], v[64:65], v[32:33] neg_lo:[0,1] neg_hi:[0,1]
	v_pk_fma_f32 v[92:93], v[62:63], v[66:67], v[90:91] op_sel:[0,0,1] op_sel_hi:[1,1,0] neg_lo:[0,0,1] neg_hi:[0,0,1]
	v_pk_fma_f32 v[62:63], v[62:63], v[66:67], v[90:91] op_sel:[0,0,1] op_sel_hi:[1,0,0]
	s_waitcnt lgkmcnt(0)
	v_pk_add_f32 v[58:59], v[0:1], v[82:83] neg_lo:[0,1] neg_hi:[0,1]
	v_pk_add_f32 v[22:23], v[84:85], v[22:23] neg_lo:[0,1] neg_hi:[0,1]
	v_pk_fma_f32 v[64:65], v[64:65], 2.0, v[32:33] op_sel_hi:[1,0,1] neg_lo:[0,0,1] neg_hi:[0,0,1]
	v_mov_b32_e32 v93, v63
	v_pk_fma_f32 v[0:1], v[0:1], 2.0, v[58:59] op_sel_hi:[1,0,1] neg_lo:[0,0,1] neg_hi:[0,0,1]
	v_pk_fma_f32 v[62:63], v[84:85], 2.0, v[22:23] op_sel_hi:[1,0,1] neg_lo:[0,0,1] neg_hi:[0,0,1]
	s_barrier
	ds_write_b64 v50, v[64:65]
	v_pk_add_f32 v[64:65], v[24:25], v[60:61] op_sel:[0,1] op_sel_hi:[1,0] neg_lo:[0,1] neg_hi:[0,1]
	v_pk_add_f32 v[60:61], v[24:25], v[60:61] op_sel:[0,1] op_sel_hi:[1,0]
	v_pk_add_f32 v[62:63], v[0:1], v[62:63] neg_lo:[0,1] neg_hi:[0,1]
	v_mov_b32_e32 v65, v61
	v_pk_add_f32 v[52:53], v[14:15], v[80:81] neg_lo:[0,1] neg_hi:[0,1]
	v_pk_add_f32 v[54:55], v[78:79], v[54:55] neg_lo:[0,1] neg_hi:[0,1]
	v_pk_fma_f32 v[0:1], v[0:1], 2.0, v[62:63] op_sel_hi:[1,0,1] neg_lo:[0,0,1] neg_hi:[0,0,1]
	v_pk_fma_f32 v[24:25], v[24:25], 2.0, v[64:65] op_sel_hi:[1,0,1] neg_lo:[0,0,1] neg_hi:[0,0,1]
	;; [unrolled: 1-line block ×4, first 2 shown]
	ds_write_b64 v50, v[24:25] offset:8000
	ds_write_b64 v50, v[32:33] offset:16000
	;; [unrolled: 1-line block ×3, first 2 shown]
	ds_write_b64 v20, v[0:1]
	v_pk_add_f32 v[0:1], v[58:59], v[22:23] op_sel:[0,1] op_sel_hi:[1,0] neg_lo:[0,1] neg_hi:[0,1]
	v_pk_add_f32 v[22:23], v[58:59], v[22:23] op_sel:[0,1] op_sel_hi:[1,0]
	v_pk_add_f32 v[56:57], v[14:15], v[56:57] neg_lo:[0,1] neg_hi:[0,1]
	v_mov_b32_e32 v1, v23
	v_pk_fma_f32 v[14:15], v[14:15], 2.0, v[56:57] op_sel_hi:[1,0,1] neg_lo:[0,0,1] neg_hi:[0,0,1]
	v_pk_fma_f32 v[22:23], v[58:59], 2.0, v[0:1] op_sel_hi:[1,0,1] neg_lo:[0,0,1] neg_hi:[0,0,1]
	v_pk_add_f32 v[28:29], v[26:27], v[72:73] neg_lo:[0,1] neg_hi:[0,1]
	v_pk_add_f32 v[30:31], v[74:75], v[86:87] neg_lo:[0,1] neg_hi:[0,1]
	ds_write_b64 v20, v[22:23] offset:8000
	ds_write_b64 v20, v[62:63] offset:16000
	;; [unrolled: 1-line block ×3, first 2 shown]
	ds_write_b64 v18, v[14:15]
	v_pk_add_f32 v[0:1], v[52:53], v[54:55] op_sel:[0,1] op_sel_hi:[1,0] neg_lo:[0,1] neg_hi:[0,1]
	v_pk_add_f32 v[14:15], v[52:53], v[54:55] op_sel:[0,1] op_sel_hi:[1,0]
	v_pk_fma_f32 v[26:27], v[26:27], 2.0, v[28:29] op_sel_hi:[1,0,1] neg_lo:[0,0,1] neg_hi:[0,0,1]
	v_pk_fma_f32 v[34:35], v[74:75], 2.0, v[30:31] op_sel_hi:[1,0,1] neg_lo:[0,0,1] neg_hi:[0,0,1]
	v_mov_b32_e32 v1, v15
	v_pk_add_f32 v[8:9], v[68:69], v[92:93] neg_lo:[0,1] neg_hi:[0,1]
	v_pk_add_f32 v[34:35], v[26:27], v[34:35] neg_lo:[0,1] neg_hi:[0,1]
	v_pk_fma_f32 v[14:15], v[52:53], 2.0, v[0:1] op_sel_hi:[1,0,1] neg_lo:[0,0,1] neg_hi:[0,0,1]
	v_pk_fma_f32 v[10:11], v[68:69], 2.0, v[8:9] op_sel_hi:[1,0,1] neg_lo:[0,0,1] neg_hi:[0,0,1]
	v_pk_fma_f32 v[26:27], v[26:27], 2.0, v[34:35] op_sel_hi:[1,0,1] neg_lo:[0,0,1] neg_hi:[0,0,1]
	ds_write_b64 v18, v[14:15] offset:8000
	ds_write_b64 v18, v[56:57] offset:16000
	;; [unrolled: 1-line block ×3, first 2 shown]
	ds_write_b64 v7, v[26:27]
	v_pk_add_f32 v[0:1], v[28:29], v[30:31] op_sel:[0,1] op_sel_hi:[1,0] neg_lo:[0,1] neg_hi:[0,1]
	v_pk_add_f32 v[14:15], v[28:29], v[30:31] op_sel:[0,1] op_sel_hi:[1,0]
	v_pk_add_f32 v[10:11], v[4:5], v[10:11] neg_lo:[0,1] neg_hi:[0,1]
	v_mov_b32_e32 v1, v15
	v_pk_fma_f32 v[4:5], v[4:5], 2.0, v[10:11] op_sel_hi:[1,0,1] neg_lo:[0,0,1] neg_hi:[0,0,1]
	v_pk_fma_f32 v[14:15], v[28:29], 2.0, v[0:1] op_sel_hi:[1,0,1] neg_lo:[0,0,1] neg_hi:[0,0,1]
	ds_write_b64 v7, v[14:15] offset:8000
	ds_write_b64 v7, v[34:35] offset:16000
	;; [unrolled: 1-line block ×3, first 2 shown]
	ds_write_b64 v17, v[4:5]
	v_pk_add_f32 v[0:1], v[2:3], v[8:9] op_sel:[0,1] op_sel_hi:[1,0] neg_lo:[0,1] neg_hi:[0,1]
	v_pk_add_f32 v[4:5], v[2:3], v[8:9] op_sel:[0,1] op_sel_hi:[1,0]
	v_sub_u32_e32 v6, 0, v39
	v_mov_b32_e32 v1, v5
	v_pk_fma_f32 v[2:3], v[2:3], 2.0, v[0:1] op_sel_hi:[1,0,1] neg_lo:[0,0,1] neg_hi:[0,0,1]
	ds_write_b64 v17, v[2:3] offset:8000
	ds_write_b64 v17, v[10:11] offset:16000
	;; [unrolled: 1-line block ×3, first 2 shown]
	s_waitcnt lgkmcnt(0)
	s_barrier
	ds_read_b64 v[4:5], v50
                                        ; implicit-def: $vgpr3
                                        ; implicit-def: $vgpr0_vgpr1
	s_and_saveexec_b64 s[8:9], vcc
	s_xor_b64 s[8:9], exec, s[8:9]
	s_cbranch_execz .LBB0_15
; %bb.14:
	v_mov_b32_e32 v39, v13
	v_lshl_add_u64 v[0:1], v[38:39], 3, s[4:5]
	global_load_dwordx2 v[0:1], v[0:1], off
	ds_read_b64 v[2:3], v6 offset:32000
	v_mov_b32_e32 v9, 0.5
	v_mov_b32_e32 v10, v9
	s_waitcnt lgkmcnt(0)
	v_pk_add_f32 v[12:13], v[2:3], v[4:5]
	v_pk_add_f32 v[2:3], v[4:5], v[2:3] neg_lo:[0,1] neg_hi:[0,1]
	v_mov_b32_e32 v4, v13
	v_mov_b32_e32 v5, v2
	v_pk_mul_f32 v[4:5], v[4:5], 0.5 op_sel_hi:[1,0]
	s_waitcnt vmcnt(0)
	v_mov_b32_e32 v8, v1
	v_mov_b32_e32 v2, v5
	;; [unrolled: 1-line block ×4, first 2 shown]
	v_pk_mul_f32 v[2:3], v[8:9], v[2:3]
	v_pk_mul_f32 v[14:15], v[0:1], v[4:5] op_sel_hi:[0,1]
	v_pk_fma_f32 v[8:9], v[12:13], v[10:11], v[2:3]
	v_pk_fma_f32 v[10:11], v[12:13], v[10:11], v[2:3] neg_lo:[0,0,1] neg_hi:[0,0,1]
	v_pk_fma_f32 v[2:3], v[0:1], v[4:5], v[8:9] op_sel_hi:[0,1,1] neg_lo:[1,0,0] neg_hi:[1,0,0]
	v_pk_fma_f32 v[0:1], v[0:1], v[4:5], v[10:11] op_sel_hi:[0,1,1] neg_lo:[1,0,0] neg_hi:[1,0,0]
	v_add_f32_e32 v2, v8, v14
                                        ; implicit-def: $vgpr4_vgpr5
.LBB0_15:
	s_or_saveexec_b64 s[8:9], s[8:9]
	v_mul_i32_i24_e32 v8, 0xffffffb8, v42
	s_xor_b64 exec, exec, s[8:9]
	s_cbranch_execz .LBB0_17
; %bb.16:
	s_waitcnt lgkmcnt(0)
	v_mov_b32_e32 v0, v5
	v_pk_add_f32 v[0:1], v[4:5], v[0:1] neg_lo:[0,1] neg_hi:[0,1]
	v_add_f32_e32 v2, v5, v4
	v_mov_b32_e32 v1, 0
	ds_read_b32 v3, v1 offset:16004
	s_waitcnt lgkmcnt(0)
	v_xor_b32_e32 v3, 0x80000000, v3
	ds_write_b32 v1, v3 offset:16004
	v_mov_b32_e32 v3, v1
.LBB0_17:
	s_or_b64 exec, exec, s[8:9]
	v_mov_b32_e32 v43, 0
	s_waitcnt lgkmcnt(0)
	v_lshl_add_u64 v[4:5], v[42:43], 3, s[4:5]
	global_load_dwordx2 v[4:5], v[4:5], off
	v_mov_b32_e32 v49, v43
	v_lshl_add_u64 v[10:11], v[48:49], 3, s[4:5]
	global_load_dwordx2 v[10:11], v[10:11], off
	v_mov_b32_e32 v47, v43
	;; [unrolled: 3-line block ×3, first 2 shown]
	ds_write_b64 v50, v[2:3]
	ds_write_b64 v6, v[0:1] offset:32000
	v_lshl_add_u64 v[2:3], v[44:45], 3, s[4:5]
	global_load_dwordx2 v[2:3], v[2:3], off
	v_add_u32_e32 v42, 0x3e8, v38
	v_add_u32_e32 v19, v16, v8
	v_lshl_add_u64 v[28:29], v[42:43], 3, s[4:5]
	ds_read_b64 v[8:9], v19
	ds_read_b64 v[14:15], v6 offset:30400
	global_load_dwordx2 v[28:29], v[28:29], off
	v_mov_b32_e32 v1, 0.5
	v_mov_b32_e32 v20, v1
	v_add_u32_e32 v42, 0x4b0, v38
	s_waitcnt lgkmcnt(0)
	v_pk_add_f32 v[32:33], v[8:9], v[14:15]
	v_pk_add_f32 v[8:9], v[8:9], v[14:15] neg_lo:[0,1] neg_hi:[0,1]
	v_mov_b32_e32 v14, v33
	v_mov_b32_e32 v15, v8
	v_pk_mul_f32 v[14:15], v[14:15], 0.5 op_sel_hi:[1,0]
	v_lshl_add_u64 v[30:31], v[42:43], 3, s[4:5]
	v_mov_b32_e32 v33, v14
	v_mov_b32_e32 v8, v15
	;; [unrolled: 1-line block ×4, first 2 shown]
	v_add_u32_e32 v42, 0x578, v38
	v_mov_b32_e32 v26, v1
	v_mov_b32_e32 v16, v1
	s_waitcnt vmcnt(4)
	v_mov_b32_e32 v21, v5
	v_mov_b32_e32 v0, v5
	v_pk_mul_f32 v[20:21], v[32:33], v[20:21]
	s_waitcnt vmcnt(3)
	v_mov_b32_e32 v23, v11
	v_pk_fma_f32 v[32:33], v[0:1], v[8:9], v[20:21] neg_lo:[1,0,0] neg_hi:[1,0,0]
	v_pk_fma_f32 v[8:9], v[0:1], v[8:9], v[20:21]
	v_pk_fma_f32 v[20:21], v[4:5], v[14:15], v[32:33] op_sel_hi:[0,1,1] neg_lo:[1,0,0] neg_hi:[1,0,0]
	v_pk_fma_f32 v[32:33], v[4:5], v[14:15], v[8:9] op_sel_hi:[0,1,1]
	v_pk_fma_f32 v[4:5], v[4:5], v[14:15], v[8:9] op_sel_hi:[0,1,1] neg_lo:[1,0,0] neg_hi:[1,0,0]
	v_mov_b32_e32 v33, v5
	ds_write_b64 v19, v[32:33]
	ds_write_b64 v6, v[20:21] offset:30400
	ds_read_b64 v[4:5], v18
	ds_read_b64 v[8:9], v6 offset:28800
	global_load_dwordx2 v[14:15], v[30:31], off
	v_mov_b32_e32 v0, v11
	s_waitcnt vmcnt(3)
	v_mov_b32_e32 v25, v13
	v_lshl_add_u64 v[20:21], v[42:43], 3, s[4:5]
	s_waitcnt lgkmcnt(0)
	v_pk_add_f32 v[30:31], v[4:5], v[8:9]
	v_pk_add_f32 v[4:5], v[4:5], v[8:9] neg_lo:[0,1] neg_hi:[0,1]
	v_mov_b32_e32 v8, v31
	v_mov_b32_e32 v9, v4
	v_pk_mul_f32 v[8:9], v[8:9], 0.5 op_sel_hi:[1,0]
	s_waitcnt vmcnt(2)
	v_mov_b32_e32 v27, v3
	v_mov_b32_e32 v31, v8
	;; [unrolled: 1-line block ×3, first 2 shown]
	v_pk_mul_f32 v[22:23], v[30:31], v[22:23]
	v_add_u32_e32 v42, 0x640, v38
	v_pk_fma_f32 v[30:31], v[0:1], v[4:5], v[22:23] neg_lo:[1,0,0] neg_hi:[1,0,0]
	v_pk_fma_f32 v[4:5], v[0:1], v[4:5], v[22:23]
	v_pk_fma_f32 v[22:23], v[10:11], v[8:9], v[30:31] op_sel_hi:[0,1,1] neg_lo:[1,0,0] neg_hi:[1,0,0]
	v_pk_fma_f32 v[30:31], v[10:11], v[8:9], v[4:5] op_sel_hi:[0,1,1]
	v_pk_fma_f32 v[4:5], v[10:11], v[8:9], v[4:5] op_sel_hi:[0,1,1] neg_lo:[1,0,0] neg_hi:[1,0,0]
	v_mov_b32_e32 v31, v5
	ds_write_b64 v18, v[30:31]
	ds_write_b64 v6, v[22:23] offset:28800
	ds_read_b64 v[4:5], v7
	ds_read_b64 v[8:9], v6 offset:27200
	v_mov_b32_e32 v0, v13
	global_load_dwordx2 v[10:11], v[20:21], off
	s_waitcnt lgkmcnt(0)
	v_pk_add_f32 v[18:19], v[4:5], v[8:9]
	v_pk_add_f32 v[4:5], v[4:5], v[8:9] neg_lo:[0,1] neg_hi:[0,1]
	v_mov_b32_e32 v8, v19
	v_mov_b32_e32 v9, v4
	v_pk_mul_f32 v[8:9], v[8:9], 0.5 op_sel_hi:[1,0]
	s_nop 0
	v_mov_b32_e32 v19, v8
	v_mov_b32_e32 v4, v9
	v_pk_mul_f32 v[18:19], v[18:19], v[24:25]
	s_nop 0
	v_pk_fma_f32 v[20:21], v[0:1], v[4:5], v[18:19] neg_lo:[1,0,0] neg_hi:[1,0,0]
	v_pk_fma_f32 v[4:5], v[0:1], v[4:5], v[18:19]
	v_pk_fma_f32 v[18:19], v[12:13], v[8:9], v[20:21] op_sel_hi:[0,1,1] neg_lo:[1,0,0] neg_hi:[1,0,0]
	v_pk_fma_f32 v[20:21], v[12:13], v[8:9], v[4:5] op_sel_hi:[0,1,1]
	v_pk_fma_f32 v[4:5], v[12:13], v[8:9], v[4:5] op_sel_hi:[0,1,1] neg_lo:[1,0,0] neg_hi:[1,0,0]
	v_mov_b32_e32 v21, v5
	ds_write_b64 v7, v[20:21]
	ds_write_b64 v6, v[18:19] offset:27200
	ds_read_b64 v[4:5], v17
	ds_read_b64 v[8:9], v6 offset:25600
	v_mov_b32_e32 v0, v3
	v_lshl_add_u64 v[12:13], v[42:43], 3, s[4:5]
	global_load_dwordx2 v[12:13], v[12:13], off
	v_add_u32_e32 v42, 0x708, v38
	s_waitcnt lgkmcnt(0)
	v_pk_add_f32 v[18:19], v[4:5], v[8:9]
	v_pk_add_f32 v[4:5], v[4:5], v[8:9] neg_lo:[0,1] neg_hi:[0,1]
	v_mov_b32_e32 v8, v19
	v_mov_b32_e32 v9, v4
	v_pk_mul_f32 v[8:9], v[8:9], 0.5 op_sel_hi:[1,0]
	s_nop 0
	v_mov_b32_e32 v19, v8
	v_mov_b32_e32 v4, v9
	v_pk_mul_f32 v[18:19], v[18:19], v[26:27]
	s_nop 0
	v_pk_fma_f32 v[20:21], v[0:1], v[4:5], v[18:19] neg_lo:[1,0,0] neg_hi:[1,0,0]
	v_pk_fma_f32 v[4:5], v[0:1], v[4:5], v[18:19]
	v_pk_fma_f32 v[18:19], v[2:3], v[8:9], v[20:21] op_sel_hi:[0,1,1] neg_lo:[1,0,0] neg_hi:[1,0,0]
	v_pk_fma_f32 v[20:21], v[2:3], v[8:9], v[4:5] op_sel_hi:[0,1,1]
	v_pk_fma_f32 v[2:3], v[2:3], v[8:9], v[4:5] op_sel_hi:[0,1,1] neg_lo:[1,0,0] neg_hi:[1,0,0]
	v_mov_b32_e32 v21, v3
	ds_write_b64 v17, v[20:21]
	ds_write_b64 v6, v[18:19] offset:25600
	ds_read_b64 v[2:3], v50 offset:8000
	ds_read_b64 v[4:5], v6 offset:24000
	s_waitcnt vmcnt(3)
	v_mov_b32_e32 v17, v29
	v_mov_b32_e32 v0, v29
	v_lshl_add_u64 v[8:9], v[42:43], 3, s[4:5]
	s_waitcnt lgkmcnt(0)
	v_pk_add_f32 v[18:19], v[2:3], v[4:5]
	v_pk_add_f32 v[2:3], v[2:3], v[4:5] neg_lo:[0,1] neg_hi:[0,1]
	v_mov_b32_e32 v4, v19
	v_mov_b32_e32 v5, v2
	v_pk_mul_f32 v[4:5], v[4:5], 0.5 op_sel_hi:[1,0]
	s_nop 0
	v_mov_b32_e32 v19, v4
	v_mov_b32_e32 v2, v5
	v_pk_mul_f32 v[16:17], v[18:19], v[16:17]
	s_nop 0
	v_pk_fma_f32 v[18:19], v[0:1], v[2:3], v[16:17] neg_lo:[1,0,0] neg_hi:[1,0,0]
	v_pk_fma_f32 v[2:3], v[0:1], v[2:3], v[16:17]
	v_pk_fma_f32 v[16:17], v[28:29], v[4:5], v[18:19] op_sel_hi:[0,1,1] neg_lo:[1,0,0] neg_hi:[1,0,0]
	v_pk_fma_f32 v[18:19], v[28:29], v[4:5], v[2:3] op_sel_hi:[0,1,1]
	v_pk_fma_f32 v[2:3], v[28:29], v[4:5], v[2:3] op_sel_hi:[0,1,1] neg_lo:[1,0,0] neg_hi:[1,0,0]
	v_mov_b32_e32 v19, v3
	ds_write_b64 v50, v[18:19] offset:8000
	ds_write_b64 v6, v[16:17] offset:24000
	ds_read_b64 v[2:3], v50 offset:9600
	ds_read_b64 v[4:5], v6 offset:22400
	global_load_dwordx2 v[8:9], v[8:9], off
	v_mov_b32_e32 v16, v1
	s_waitcnt vmcnt(3)
	v_mov_b32_e32 v17, v15
	v_mov_b32_e32 v0, v15
	s_waitcnt lgkmcnt(0)
	v_pk_add_f32 v[18:19], v[2:3], v[4:5]
	v_pk_add_f32 v[2:3], v[2:3], v[4:5] neg_lo:[0,1] neg_hi:[0,1]
	v_mov_b32_e32 v4, v19
	v_mov_b32_e32 v5, v2
	v_pk_mul_f32 v[4:5], v[4:5], 0.5 op_sel_hi:[1,0]
	s_nop 0
	v_mov_b32_e32 v19, v4
	v_mov_b32_e32 v2, v5
	v_pk_mul_f32 v[16:17], v[18:19], v[16:17]
	s_nop 0
	v_pk_fma_f32 v[18:19], v[0:1], v[2:3], v[16:17] neg_lo:[1,0,0] neg_hi:[1,0,0]
	v_pk_fma_f32 v[2:3], v[0:1], v[2:3], v[16:17]
	v_pk_fma_f32 v[16:17], v[14:15], v[4:5], v[18:19] op_sel_hi:[0,1,1] neg_lo:[1,0,0] neg_hi:[1,0,0]
	v_pk_fma_f32 v[18:19], v[14:15], v[4:5], v[2:3] op_sel_hi:[0,1,1]
	v_pk_fma_f32 v[2:3], v[14:15], v[4:5], v[2:3] op_sel_hi:[0,1,1] neg_lo:[1,0,0] neg_hi:[1,0,0]
	v_mov_b32_e32 v19, v3
	ds_write_b64 v50, v[18:19] offset:9600
	ds_write_b64 v6, v[16:17] offset:22400
	ds_read_b64 v[2:3], v50 offset:11200
	ds_read_b64 v[4:5], v6 offset:20800
	v_mov_b32_e32 v16, v1
	s_waitcnt vmcnt(2)
	v_mov_b32_e32 v17, v11
	v_mov_b32_e32 v0, v11
	s_waitcnt lgkmcnt(0)
	v_pk_add_f32 v[14:15], v[2:3], v[4:5]
	v_pk_add_f32 v[2:3], v[2:3], v[4:5] neg_lo:[0,1] neg_hi:[0,1]
	v_mov_b32_e32 v4, v15
	v_mov_b32_e32 v5, v2
	v_pk_mul_f32 v[4:5], v[4:5], 0.5 op_sel_hi:[1,0]
	s_nop 0
	v_mov_b32_e32 v15, v4
	v_mov_b32_e32 v2, v5
	v_pk_mul_f32 v[14:15], v[14:15], v[16:17]
	s_nop 0
	v_pk_fma_f32 v[16:17], v[0:1], v[2:3], v[14:15] neg_lo:[1,0,0] neg_hi:[1,0,0]
	v_pk_fma_f32 v[2:3], v[0:1], v[2:3], v[14:15]
	v_pk_fma_f32 v[16:17], v[10:11], v[4:5], v[16:17] op_sel_hi:[0,1,1] neg_lo:[1,0,0] neg_hi:[1,0,0]
	v_pk_fma_f32 v[14:15], v[10:11], v[4:5], v[2:3] op_sel_hi:[0,1,1]
	v_pk_fma_f32 v[2:3], v[10:11], v[4:5], v[2:3] op_sel_hi:[0,1,1] neg_lo:[1,0,0] neg_hi:[1,0,0]
	v_mov_b32_e32 v15, v3
	ds_write_b64 v50, v[14:15] offset:11200
	ds_write_b64 v6, v[16:17] offset:20800
	ds_read_b64 v[2:3], v50 offset:12800
	ds_read_b64 v[4:5], v6 offset:19200
	;; [unrolled: 25-line block ×3, first 2 shown]
	v_mov_b32_e32 v12, v1
	s_waitcnt lgkmcnt(0)
	v_pk_add_f32 v[10:11], v[2:3], v[4:5]
	v_pk_add_f32 v[2:3], v[2:3], v[4:5] neg_lo:[0,1] neg_hi:[0,1]
	v_mov_b32_e32 v4, v11
	v_mov_b32_e32 v5, v2
	v_pk_mul_f32 v[4:5], v[4:5], 0.5 op_sel_hi:[1,0]
	s_waitcnt vmcnt(0)
	v_mov_b32_e32 v13, v9
	v_mov_b32_e32 v11, v4
	;; [unrolled: 1-line block ×4, first 2 shown]
	v_pk_mul_f32 v[10:11], v[10:11], v[12:13]
	s_nop 0
	v_pk_fma_f32 v[12:13], v[0:1], v[2:3], v[10:11] neg_lo:[1,0,0] neg_hi:[1,0,0]
	v_pk_fma_f32 v[0:1], v[0:1], v[2:3], v[10:11]
	v_pk_fma_f32 v[12:13], v[8:9], v[4:5], v[12:13] op_sel_hi:[0,1,1] neg_lo:[1,0,0] neg_hi:[1,0,0]
	v_pk_fma_f32 v[2:3], v[8:9], v[4:5], v[0:1] op_sel_hi:[0,1,1]
	v_pk_fma_f32 v[0:1], v[8:9], v[4:5], v[0:1] op_sel_hi:[0,1,1] neg_lo:[1,0,0] neg_hi:[1,0,0]
	v_mov_b32_e32 v3, v1
	ds_write_b64 v50, v[2:3] offset:14400
	ds_write_b64 v6, v[12:13] offset:17600
	s_waitcnt lgkmcnt(0)
	s_barrier
	s_and_saveexec_b64 s[4:5], s[0:1]
	s_cbranch_execz .LBB0_20
; %bb.18:
	v_mul_lo_u32 v2, s3, v40
	v_mul_lo_u32 v3, s2, v41
	v_mad_u64_u32 v[0:1], s[0:1], s2, v40, 0
	v_lshl_add_u32 v10, v38, 3, 0
	v_add3_u32 v1, v1, v3, v2
	ds_read2_b64 v[2:5], v10 offset1:200
	v_lshl_add_u64 v[0:1], v[0:1], 3, s[6:7]
	v_mov_b32_e32 v39, v43
	v_lshl_add_u64 v[0:1], v[36:37], 3, v[0:1]
	v_lshl_add_u64 v[6:7], v[38:39], 3, v[0:1]
	s_waitcnt lgkmcnt(0)
	global_store_dwordx2 v[6:7], v[2:3], off
	v_add_u32_e32 v2, 0xc00, v10
	ds_read2_b64 v[6:9], v2 offset0:16 offset1:216
	v_add_u32_e32 v42, 0xc8, v38
	v_lshl_add_u64 v[2:3], v[42:43], 3, v[0:1]
	v_add_u32_e32 v42, 0x190, v38
	global_store_dwordx2 v[2:3], v[4:5], off
	v_lshl_add_u64 v[2:3], v[42:43], 3, v[0:1]
	s_waitcnt lgkmcnt(0)
	global_store_dwordx2 v[2:3], v[6:7], off
	v_add_u32_e32 v2, 0x1800, v10
	ds_read2_b64 v[2:5], v2 offset0:32 offset1:232
	v_add_u32_e32 v42, 0x258, v38
	v_lshl_add_u64 v[6:7], v[42:43], 3, v[0:1]
	v_add_u32_e32 v42, 0x320, v38
	global_store_dwordx2 v[6:7], v[8:9], off
	v_lshl_add_u64 v[6:7], v[42:43], 3, v[0:1]
	s_waitcnt lgkmcnt(0)
	global_store_dwordx2 v[6:7], v[2:3], off
	v_add_u32_e32 v2, 0x2400, v10
	ds_read2_b64 v[6:9], v2 offset0:48 offset1:248
	v_add_u32_e32 v42, 0x3e8, v38
	v_lshl_add_u64 v[2:3], v[42:43], 3, v[0:1]
	v_add_u32_e32 v42, 0x4b0, v38
	global_store_dwordx2 v[2:3], v[4:5], off
	v_lshl_add_u64 v[2:3], v[42:43], 3, v[0:1]
	s_waitcnt lgkmcnt(0)
	global_store_dwordx2 v[2:3], v[6:7], off
	v_add_u32_e32 v2, 0x3200, v10
	ds_read2_b64 v[2:5], v2 offset1:200
	v_add_u32_e32 v42, 0x578, v38
	v_lshl_add_u64 v[6:7], v[42:43], 3, v[0:1]
	v_add_u32_e32 v42, 0x640, v38
	global_store_dwordx2 v[6:7], v[8:9], off
	v_lshl_add_u64 v[6:7], v[42:43], 3, v[0:1]
	s_waitcnt lgkmcnt(0)
	global_store_dwordx2 v[6:7], v[2:3], off
	v_add_u32_e32 v2, 0x3e00, v10
	ds_read2_b64 v[6:9], v2 offset0:16 offset1:216
	v_add_u32_e32 v42, 0x708, v38
	v_lshl_add_u64 v[2:3], v[42:43], 3, v[0:1]
	v_add_u32_e32 v42, 0x7d0, v38
	global_store_dwordx2 v[2:3], v[4:5], off
	v_lshl_add_u64 v[2:3], v[42:43], 3, v[0:1]
	s_waitcnt lgkmcnt(0)
	global_store_dwordx2 v[2:3], v[6:7], off
	v_add_u32_e32 v2, 0x4a00, v10
	ds_read2_b64 v[2:5], v2 offset0:32 offset1:232
	;; [unrolled: 9-line block ×3, first 2 shown]
	v_add_u32_e32 v42, 0xa28, v38
	v_lshl_add_u64 v[2:3], v[42:43], 3, v[0:1]
	v_add_u32_e32 v42, 0xaf0, v38
	global_store_dwordx2 v[2:3], v[4:5], off
	v_lshl_add_u64 v[2:3], v[42:43], 3, v[0:1]
	s_waitcnt lgkmcnt(0)
	global_store_dwordx2 v[2:3], v[6:7], off
	v_add_u32_e32 v2, 0x6400, v10
	ds_read2_b64 v[2:5], v2 offset1:200
	v_add_u32_e32 v42, 0xbb8, v38
	v_lshl_add_u64 v[6:7], v[42:43], 3, v[0:1]
	v_add_u32_e32 v42, 0xc80, v38
	global_store_dwordx2 v[6:7], v[8:9], off
	v_lshl_add_u64 v[6:7], v[42:43], 3, v[0:1]
	s_waitcnt lgkmcnt(0)
	global_store_dwordx2 v[6:7], v[2:3], off
	v_add_u32_e32 v2, 0x7000, v10
	ds_read2_b64 v[6:9], v2 offset0:16 offset1:216
	v_add_u32_e32 v42, 0xd48, v38
	v_lshl_add_u64 v[2:3], v[42:43], 3, v[0:1]
	v_add_u32_e32 v42, 0xe10, v38
	global_store_dwordx2 v[2:3], v[4:5], off
	v_lshl_add_u64 v[2:3], v[42:43], 3, v[0:1]
	v_add_u32_e32 v42, 0xed8, v38
	s_movk_i32 s0, 0xc7
	s_waitcnt lgkmcnt(0)
	global_store_dwordx2 v[2:3], v[6:7], off
	v_lshl_add_u64 v[2:3], v[42:43], 3, v[0:1]
	v_cmp_eq_u32_e32 vcc, s0, v38
	global_store_dwordx2 v[2:3], v[8:9], off
	s_and_b64 exec, exec, vcc
	s_cbranch_execz .LBB0_20
; %bb.19:
	v_mov_b32_e32 v2, 0
	ds_read_b64 v[2:3], v2 offset:32000
	v_add_co_u32_e32 v0, vcc, 0x7000, v0
	s_nop 1
	v_addc_co_u32_e32 v1, vcc, 0, v1, vcc
	s_waitcnt lgkmcnt(0)
	global_store_dwordx2 v[0:1], v[2:3], off offset:3328
.LBB0_20:
	s_endpgm
	.section	.rodata,"a",@progbits
	.p2align	6, 0x0
	.amdhsa_kernel fft_rtc_fwd_len4000_factors_10_10_10_4_wgs_200_tpt_200_halfLds_sp_op_CI_CI_unitstride_sbrr_R2C_dirReg
		.amdhsa_group_segment_fixed_size 0
		.amdhsa_private_segment_fixed_size 0
		.amdhsa_kernarg_size 104
		.amdhsa_user_sgpr_count 2
		.amdhsa_user_sgpr_dispatch_ptr 0
		.amdhsa_user_sgpr_queue_ptr 0
		.amdhsa_user_sgpr_kernarg_segment_ptr 1
		.amdhsa_user_sgpr_dispatch_id 0
		.amdhsa_user_sgpr_kernarg_preload_length 0
		.amdhsa_user_sgpr_kernarg_preload_offset 0
		.amdhsa_user_sgpr_private_segment_size 0
		.amdhsa_uses_dynamic_stack 0
		.amdhsa_enable_private_segment 0
		.amdhsa_system_sgpr_workgroup_id_x 1
		.amdhsa_system_sgpr_workgroup_id_y 0
		.amdhsa_system_sgpr_workgroup_id_z 0
		.amdhsa_system_sgpr_workgroup_info 0
		.amdhsa_system_vgpr_workitem_id 0
		.amdhsa_next_free_vgpr 118
		.amdhsa_next_free_sgpr 28
		.amdhsa_accum_offset 120
		.amdhsa_reserve_vcc 1
		.amdhsa_float_round_mode_32 0
		.amdhsa_float_round_mode_16_64 0
		.amdhsa_float_denorm_mode_32 3
		.amdhsa_float_denorm_mode_16_64 3
		.amdhsa_dx10_clamp 1
		.amdhsa_ieee_mode 1
		.amdhsa_fp16_overflow 0
		.amdhsa_tg_split 0
		.amdhsa_exception_fp_ieee_invalid_op 0
		.amdhsa_exception_fp_denorm_src 0
		.amdhsa_exception_fp_ieee_div_zero 0
		.amdhsa_exception_fp_ieee_overflow 0
		.amdhsa_exception_fp_ieee_underflow 0
		.amdhsa_exception_fp_ieee_inexact 0
		.amdhsa_exception_int_div_zero 0
	.end_amdhsa_kernel
	.text
.Lfunc_end0:
	.size	fft_rtc_fwd_len4000_factors_10_10_10_4_wgs_200_tpt_200_halfLds_sp_op_CI_CI_unitstride_sbrr_R2C_dirReg, .Lfunc_end0-fft_rtc_fwd_len4000_factors_10_10_10_4_wgs_200_tpt_200_halfLds_sp_op_CI_CI_unitstride_sbrr_R2C_dirReg
                                        ; -- End function
	.section	.AMDGPU.csdata,"",@progbits
; Kernel info:
; codeLenInByte = 12912
; NumSgprs: 34
; NumVgprs: 118
; NumAgprs: 0
; TotalNumVgprs: 118
; ScratchSize: 0
; MemoryBound: 0
; FloatMode: 240
; IeeeMode: 1
; LDSByteSize: 0 bytes/workgroup (compile time only)
; SGPRBlocks: 4
; VGPRBlocks: 14
; NumSGPRsForWavesPerEU: 34
; NumVGPRsForWavesPerEU: 118
; AccumOffset: 120
; Occupancy: 4
; WaveLimiterHint : 1
; COMPUTE_PGM_RSRC2:SCRATCH_EN: 0
; COMPUTE_PGM_RSRC2:USER_SGPR: 2
; COMPUTE_PGM_RSRC2:TRAP_HANDLER: 0
; COMPUTE_PGM_RSRC2:TGID_X_EN: 1
; COMPUTE_PGM_RSRC2:TGID_Y_EN: 0
; COMPUTE_PGM_RSRC2:TGID_Z_EN: 0
; COMPUTE_PGM_RSRC2:TIDIG_COMP_CNT: 0
; COMPUTE_PGM_RSRC3_GFX90A:ACCUM_OFFSET: 29
; COMPUTE_PGM_RSRC3_GFX90A:TG_SPLIT: 0
	.text
	.p2alignl 6, 3212836864
	.fill 256, 4, 3212836864
	.type	__hip_cuid_e1e52fe982f7b458,@object ; @__hip_cuid_e1e52fe982f7b458
	.section	.bss,"aw",@nobits
	.globl	__hip_cuid_e1e52fe982f7b458
__hip_cuid_e1e52fe982f7b458:
	.byte	0                               ; 0x0
	.size	__hip_cuid_e1e52fe982f7b458, 1

	.ident	"AMD clang version 19.0.0git (https://github.com/RadeonOpenCompute/llvm-project roc-6.4.0 25133 c7fe45cf4b819c5991fe208aaa96edf142730f1d)"
	.section	".note.GNU-stack","",@progbits
	.addrsig
	.addrsig_sym __hip_cuid_e1e52fe982f7b458
	.amdgpu_metadata
---
amdhsa.kernels:
  - .agpr_count:     0
    .args:
      - .actual_access:  read_only
        .address_space:  global
        .offset:         0
        .size:           8
        .value_kind:     global_buffer
      - .offset:         8
        .size:           8
        .value_kind:     by_value
      - .actual_access:  read_only
        .address_space:  global
        .offset:         16
        .size:           8
        .value_kind:     global_buffer
      - .actual_access:  read_only
        .address_space:  global
        .offset:         24
        .size:           8
        .value_kind:     global_buffer
      - .actual_access:  read_only
        .address_space:  global
        .offset:         32
        .size:           8
        .value_kind:     global_buffer
      - .offset:         40
        .size:           8
        .value_kind:     by_value
      - .actual_access:  read_only
        .address_space:  global
        .offset:         48
        .size:           8
        .value_kind:     global_buffer
      - .actual_access:  read_only
        .address_space:  global
        .offset:         56
        .size:           8
        .value_kind:     global_buffer
      - .offset:         64
        .size:           4
        .value_kind:     by_value
      - .actual_access:  read_only
        .address_space:  global
        .offset:         72
        .size:           8
        .value_kind:     global_buffer
      - .actual_access:  read_only
        .address_space:  global
        .offset:         80
        .size:           8
        .value_kind:     global_buffer
      - .actual_access:  read_only
        .address_space:  global
        .offset:         88
        .size:           8
        .value_kind:     global_buffer
      - .actual_access:  write_only
        .address_space:  global
        .offset:         96
        .size:           8
        .value_kind:     global_buffer
    .group_segment_fixed_size: 0
    .kernarg_segment_align: 8
    .kernarg_segment_size: 104
    .language:       OpenCL C
    .language_version:
      - 2
      - 0
    .max_flat_workgroup_size: 200
    .name:           fft_rtc_fwd_len4000_factors_10_10_10_4_wgs_200_tpt_200_halfLds_sp_op_CI_CI_unitstride_sbrr_R2C_dirReg
    .private_segment_fixed_size: 0
    .sgpr_count:     34
    .sgpr_spill_count: 0
    .symbol:         fft_rtc_fwd_len4000_factors_10_10_10_4_wgs_200_tpt_200_halfLds_sp_op_CI_CI_unitstride_sbrr_R2C_dirReg.kd
    .uniform_work_group_size: 1
    .uses_dynamic_stack: false
    .vgpr_count:     118
    .vgpr_spill_count: 0
    .wavefront_size: 64
amdhsa.target:   amdgcn-amd-amdhsa--gfx950
amdhsa.version:
  - 1
  - 2
...

	.end_amdgpu_metadata
